;; amdgpu-corpus repo=ROCm/rocFFT kind=compiled arch=gfx1201 opt=O3
	.text
	.amdgcn_target "amdgcn-amd-amdhsa--gfx1201"
	.amdhsa_code_object_version 6
	.protected	fft_rtc_back_len816_factors_17_2_3_2_2_2_wgs_51_tpt_51_halfLds_half_ip_CI_unitstride_sbrr_C2R_dirReg ; -- Begin function fft_rtc_back_len816_factors_17_2_3_2_2_2_wgs_51_tpt_51_halfLds_half_ip_CI_unitstride_sbrr_C2R_dirReg
	.globl	fft_rtc_back_len816_factors_17_2_3_2_2_2_wgs_51_tpt_51_halfLds_half_ip_CI_unitstride_sbrr_C2R_dirReg
	.p2align	8
	.type	fft_rtc_back_len816_factors_17_2_3_2_2_2_wgs_51_tpt_51_halfLds_half_ip_CI_unitstride_sbrr_C2R_dirReg,@function
fft_rtc_back_len816_factors_17_2_3_2_2_2_wgs_51_tpt_51_halfLds_half_ip_CI_unitstride_sbrr_C2R_dirReg: ; @fft_rtc_back_len816_factors_17_2_3_2_2_2_wgs_51_tpt_51_halfLds_half_ip_CI_unitstride_sbrr_C2R_dirReg
; %bb.0:
	s_clause 0x2
	s_load_b128 s[4:7], s[0:1], 0x0
	s_load_b64 s[8:9], s[0:1], 0x50
	s_load_b64 s[10:11], s[0:1], 0x18
	v_mul_u32_u24_e32 v1, 0x506, v0
	v_mov_b32_e32 v3, 0
	s_delay_alu instid0(VALU_DEP_2) | instskip(NEXT) | instid1(VALU_DEP_1)
	v_lshrrev_b32_e32 v1, 16, v1
	v_add_nc_u32_e32 v5, ttmp9, v1
	v_mov_b32_e32 v1, 0
	v_mov_b32_e32 v2, 0
	;; [unrolled: 1-line block ×3, first 2 shown]
	s_wait_kmcnt 0x0
	v_cmp_lt_u64_e64 s2, s[6:7], 2
	s_delay_alu instid0(VALU_DEP_1)
	s_and_b32 vcc_lo, exec_lo, s2
	s_cbranch_vccnz .LBB0_8
; %bb.1:
	s_load_b64 s[2:3], s[0:1], 0x10
	v_mov_b32_e32 v1, 0
	v_mov_b32_e32 v2, 0
	s_add_nc_u64 s[12:13], s[10:11], 8
	s_mov_b64 s[14:15], 1
	s_wait_kmcnt 0x0
	s_add_nc_u64 s[16:17], s[2:3], 8
	s_mov_b32 s3, 0
.LBB0_2:                                ; =>This Inner Loop Header: Depth=1
	s_load_b64 s[18:19], s[16:17], 0x0
                                        ; implicit-def: $vgpr7_vgpr8
	s_mov_b32 s2, exec_lo
	s_wait_kmcnt 0x0
	v_or_b32_e32 v4, s19, v6
	s_delay_alu instid0(VALU_DEP_1)
	v_cmpx_ne_u64_e32 0, v[3:4]
	s_wait_alu 0xfffe
	s_xor_b32 s20, exec_lo, s2
	s_cbranch_execz .LBB0_4
; %bb.3:                                ;   in Loop: Header=BB0_2 Depth=1
	s_cvt_f32_u32 s2, s18
	s_cvt_f32_u32 s21, s19
	s_sub_nc_u64 s[24:25], 0, s[18:19]
	s_wait_alu 0xfffe
	s_delay_alu instid0(SALU_CYCLE_1) | instskip(SKIP_1) | instid1(SALU_CYCLE_2)
	s_fmamk_f32 s2, s21, 0x4f800000, s2
	s_wait_alu 0xfffe
	v_s_rcp_f32 s2, s2
	s_delay_alu instid0(TRANS32_DEP_1) | instskip(SKIP_1) | instid1(SALU_CYCLE_2)
	s_mul_f32 s2, s2, 0x5f7ffffc
	s_wait_alu 0xfffe
	s_mul_f32 s21, s2, 0x2f800000
	s_wait_alu 0xfffe
	s_delay_alu instid0(SALU_CYCLE_2) | instskip(SKIP_1) | instid1(SALU_CYCLE_2)
	s_trunc_f32 s21, s21
	s_wait_alu 0xfffe
	s_fmamk_f32 s2, s21, 0xcf800000, s2
	s_cvt_u32_f32 s23, s21
	s_wait_alu 0xfffe
	s_delay_alu instid0(SALU_CYCLE_1) | instskip(SKIP_1) | instid1(SALU_CYCLE_2)
	s_cvt_u32_f32 s22, s2
	s_wait_alu 0xfffe
	s_mul_u64 s[26:27], s[24:25], s[22:23]
	s_wait_alu 0xfffe
	s_mul_hi_u32 s29, s22, s27
	s_mul_i32 s28, s22, s27
	s_mul_hi_u32 s2, s22, s26
	s_mul_i32 s30, s23, s26
	s_wait_alu 0xfffe
	s_add_nc_u64 s[28:29], s[2:3], s[28:29]
	s_mul_hi_u32 s21, s23, s26
	s_mul_hi_u32 s31, s23, s27
	s_add_co_u32 s2, s28, s30
	s_wait_alu 0xfffe
	s_add_co_ci_u32 s2, s29, s21
	s_mul_i32 s26, s23, s27
	s_add_co_ci_u32 s27, s31, 0
	s_wait_alu 0xfffe
	s_add_nc_u64 s[26:27], s[2:3], s[26:27]
	s_wait_alu 0xfffe
	v_add_co_u32 v4, s2, s22, s26
	s_delay_alu instid0(VALU_DEP_1) | instskip(SKIP_1) | instid1(VALU_DEP_1)
	s_cmp_lg_u32 s2, 0
	s_add_co_ci_u32 s23, s23, s27
	v_readfirstlane_b32 s22, v4
	s_wait_alu 0xfffe
	s_delay_alu instid0(VALU_DEP_1)
	s_mul_u64 s[24:25], s[24:25], s[22:23]
	s_wait_alu 0xfffe
	s_mul_hi_u32 s27, s22, s25
	s_mul_i32 s26, s22, s25
	s_mul_hi_u32 s2, s22, s24
	s_mul_i32 s28, s23, s24
	s_wait_alu 0xfffe
	s_add_nc_u64 s[26:27], s[2:3], s[26:27]
	s_mul_hi_u32 s21, s23, s24
	s_mul_hi_u32 s22, s23, s25
	s_wait_alu 0xfffe
	s_add_co_u32 s2, s26, s28
	s_add_co_ci_u32 s2, s27, s21
	s_mul_i32 s24, s23, s25
	s_add_co_ci_u32 s25, s22, 0
	s_wait_alu 0xfffe
	s_add_nc_u64 s[24:25], s[2:3], s[24:25]
	s_wait_alu 0xfffe
	v_add_co_u32 v4, s2, v4, s24
	s_delay_alu instid0(VALU_DEP_1) | instskip(SKIP_1) | instid1(VALU_DEP_1)
	s_cmp_lg_u32 s2, 0
	s_add_co_ci_u32 s2, s23, s25
	v_mul_hi_u32 v13, v5, v4
	s_wait_alu 0xfffe
	v_mad_co_u64_u32 v[7:8], null, v5, s2, 0
	v_mad_co_u64_u32 v[9:10], null, v6, v4, 0
	;; [unrolled: 1-line block ×3, first 2 shown]
	s_delay_alu instid0(VALU_DEP_3) | instskip(SKIP_1) | instid1(VALU_DEP_4)
	v_add_co_u32 v4, vcc_lo, v13, v7
	s_wait_alu 0xfffd
	v_add_co_ci_u32_e32 v7, vcc_lo, 0, v8, vcc_lo
	s_delay_alu instid0(VALU_DEP_2) | instskip(SKIP_1) | instid1(VALU_DEP_2)
	v_add_co_u32 v4, vcc_lo, v4, v9
	s_wait_alu 0xfffd
	v_add_co_ci_u32_e32 v4, vcc_lo, v7, v10, vcc_lo
	s_wait_alu 0xfffd
	v_add_co_ci_u32_e32 v7, vcc_lo, 0, v12, vcc_lo
	s_delay_alu instid0(VALU_DEP_2) | instskip(SKIP_1) | instid1(VALU_DEP_2)
	v_add_co_u32 v4, vcc_lo, v4, v11
	s_wait_alu 0xfffd
	v_add_co_ci_u32_e32 v9, vcc_lo, 0, v7, vcc_lo
	s_delay_alu instid0(VALU_DEP_2) | instskip(SKIP_1) | instid1(VALU_DEP_3)
	v_mul_lo_u32 v10, s19, v4
	v_mad_co_u64_u32 v[7:8], null, s18, v4, 0
	v_mul_lo_u32 v11, s18, v9
	s_delay_alu instid0(VALU_DEP_2) | instskip(NEXT) | instid1(VALU_DEP_2)
	v_sub_co_u32 v7, vcc_lo, v5, v7
	v_add3_u32 v8, v8, v11, v10
	s_delay_alu instid0(VALU_DEP_1) | instskip(SKIP_1) | instid1(VALU_DEP_1)
	v_sub_nc_u32_e32 v10, v6, v8
	s_wait_alu 0xfffd
	v_subrev_co_ci_u32_e64 v10, s2, s19, v10, vcc_lo
	v_add_co_u32 v11, s2, v4, 2
	s_wait_alu 0xf1ff
	v_add_co_ci_u32_e64 v12, s2, 0, v9, s2
	v_sub_co_u32 v13, s2, v7, s18
	v_sub_co_ci_u32_e32 v8, vcc_lo, v6, v8, vcc_lo
	s_wait_alu 0xf1ff
	v_subrev_co_ci_u32_e64 v10, s2, 0, v10, s2
	s_delay_alu instid0(VALU_DEP_3) | instskip(NEXT) | instid1(VALU_DEP_3)
	v_cmp_le_u32_e32 vcc_lo, s18, v13
	v_cmp_eq_u32_e64 s2, s19, v8
	s_wait_alu 0xfffd
	v_cndmask_b32_e64 v13, 0, -1, vcc_lo
	v_cmp_le_u32_e32 vcc_lo, s19, v10
	s_wait_alu 0xfffd
	v_cndmask_b32_e64 v14, 0, -1, vcc_lo
	v_cmp_le_u32_e32 vcc_lo, s18, v7
	;; [unrolled: 3-line block ×3, first 2 shown]
	s_wait_alu 0xfffd
	v_cndmask_b32_e64 v15, 0, -1, vcc_lo
	v_cmp_eq_u32_e32 vcc_lo, s19, v10
	s_wait_alu 0xf1ff
	s_delay_alu instid0(VALU_DEP_2)
	v_cndmask_b32_e64 v7, v15, v7, s2
	s_wait_alu 0xfffd
	v_cndmask_b32_e32 v10, v14, v13, vcc_lo
	v_add_co_u32 v13, vcc_lo, v4, 1
	s_wait_alu 0xfffd
	v_add_co_ci_u32_e32 v14, vcc_lo, 0, v9, vcc_lo
	s_delay_alu instid0(VALU_DEP_3) | instskip(SKIP_2) | instid1(VALU_DEP_3)
	v_cmp_ne_u32_e32 vcc_lo, 0, v10
	s_wait_alu 0xfffd
	v_cndmask_b32_e32 v10, v13, v11, vcc_lo
	v_cndmask_b32_e32 v8, v14, v12, vcc_lo
	v_cmp_ne_u32_e32 vcc_lo, 0, v7
	s_wait_alu 0xfffd
	s_delay_alu instid0(VALU_DEP_2)
	v_dual_cndmask_b32 v7, v4, v10 :: v_dual_cndmask_b32 v8, v9, v8
.LBB0_4:                                ;   in Loop: Header=BB0_2 Depth=1
	s_wait_alu 0xfffe
	s_and_not1_saveexec_b32 s2, s20
	s_cbranch_execz .LBB0_6
; %bb.5:                                ;   in Loop: Header=BB0_2 Depth=1
	v_cvt_f32_u32_e32 v4, s18
	s_sub_co_i32 s20, 0, s18
	s_delay_alu instid0(VALU_DEP_1) | instskip(NEXT) | instid1(TRANS32_DEP_1)
	v_rcp_iflag_f32_e32 v4, v4
	v_mul_f32_e32 v4, 0x4f7ffffe, v4
	s_delay_alu instid0(VALU_DEP_1) | instskip(SKIP_1) | instid1(VALU_DEP_1)
	v_cvt_u32_f32_e32 v4, v4
	s_wait_alu 0xfffe
	v_mul_lo_u32 v7, s20, v4
	s_delay_alu instid0(VALU_DEP_1) | instskip(NEXT) | instid1(VALU_DEP_1)
	v_mul_hi_u32 v7, v4, v7
	v_add_nc_u32_e32 v4, v4, v7
	s_delay_alu instid0(VALU_DEP_1) | instskip(NEXT) | instid1(VALU_DEP_1)
	v_mul_hi_u32 v4, v5, v4
	v_mul_lo_u32 v7, v4, s18
	v_add_nc_u32_e32 v8, 1, v4
	s_delay_alu instid0(VALU_DEP_2) | instskip(NEXT) | instid1(VALU_DEP_1)
	v_sub_nc_u32_e32 v7, v5, v7
	v_subrev_nc_u32_e32 v9, s18, v7
	v_cmp_le_u32_e32 vcc_lo, s18, v7
	s_wait_alu 0xfffd
	s_delay_alu instid0(VALU_DEP_2) | instskip(NEXT) | instid1(VALU_DEP_1)
	v_dual_cndmask_b32 v7, v7, v9 :: v_dual_cndmask_b32 v4, v4, v8
	v_cmp_le_u32_e32 vcc_lo, s18, v7
	s_delay_alu instid0(VALU_DEP_2) | instskip(SKIP_1) | instid1(VALU_DEP_1)
	v_add_nc_u32_e32 v8, 1, v4
	s_wait_alu 0xfffd
	v_dual_cndmask_b32 v7, v4, v8 :: v_dual_mov_b32 v8, v3
.LBB0_6:                                ;   in Loop: Header=BB0_2 Depth=1
	s_wait_alu 0xfffe
	s_or_b32 exec_lo, exec_lo, s2
	s_load_b64 s[20:21], s[12:13], 0x0
	s_delay_alu instid0(VALU_DEP_1)
	v_mul_lo_u32 v4, v8, s18
	v_mul_lo_u32 v11, v7, s19
	v_mad_co_u64_u32 v[9:10], null, v7, s18, 0
	s_add_nc_u64 s[14:15], s[14:15], 1
	s_add_nc_u64 s[12:13], s[12:13], 8
	s_wait_alu 0xfffe
	v_cmp_ge_u64_e64 s2, s[14:15], s[6:7]
	s_add_nc_u64 s[16:17], s[16:17], 8
	s_delay_alu instid0(VALU_DEP_2) | instskip(NEXT) | instid1(VALU_DEP_3)
	v_add3_u32 v4, v10, v11, v4
	v_sub_co_u32 v5, vcc_lo, v5, v9
	s_wait_alu 0xfffd
	s_delay_alu instid0(VALU_DEP_2) | instskip(SKIP_3) | instid1(VALU_DEP_2)
	v_sub_co_ci_u32_e32 v4, vcc_lo, v6, v4, vcc_lo
	s_and_b32 vcc_lo, exec_lo, s2
	s_wait_kmcnt 0x0
	v_mul_lo_u32 v6, s21, v5
	v_mul_lo_u32 v4, s20, v4
	v_mad_co_u64_u32 v[1:2], null, s20, v5, v[1:2]
	s_delay_alu instid0(VALU_DEP_1)
	v_add3_u32 v2, v6, v2, v4
	s_wait_alu 0xfffe
	s_cbranch_vccnz .LBB0_9
; %bb.7:                                ;   in Loop: Header=BB0_2 Depth=1
	v_dual_mov_b32 v5, v7 :: v_dual_mov_b32 v6, v8
	s_branch .LBB0_2
.LBB0_8:
	v_dual_mov_b32 v8, v6 :: v_dual_mov_b32 v7, v5
.LBB0_9:
	s_lshl_b64 s[2:3], s[6:7], 3
	v_mul_hi_u32 v3, 0x5050506, v0
	s_wait_alu 0xfffe
	s_add_nc_u64 s[2:3], s[10:11], s[2:3]
	s_load_b64 s[2:3], s[2:3], 0x0
	s_load_b64 s[0:1], s[0:1], 0x20
	s_delay_alu instid0(VALU_DEP_1)
	v_mul_u32_u24_e32 v3, 51, v3
	s_wait_kmcnt 0x0
	v_mul_lo_u32 v4, s2, v8
	v_mul_lo_u32 v5, s3, v7
	v_mad_co_u64_u32 v[1:2], null, s2, v7, v[1:2]
	v_cmp_gt_u64_e32 vcc_lo, s[0:1], v[7:8]
	s_delay_alu instid0(VALU_DEP_2) | instskip(SKIP_2) | instid1(VALU_DEP_3)
	v_add3_u32 v2, v5, v2, v4
	v_sub_nc_u32_e32 v4, v0, v3
	v_mov_b32_e32 v5, 0
	v_lshlrev_b64_e32 v[2:3], 2, v[1:2]
	s_delay_alu instid0(VALU_DEP_3)
	v_mov_b32_e32 v0, v4
	s_and_saveexec_b32 s1, vcc_lo
	s_cbranch_execz .LBB0_13
; %bb.10:
	v_lshlrev_b64_e32 v[6:7], 2, v[4:5]
	s_delay_alu instid0(VALU_DEP_3) | instskip(SKIP_3) | instid1(VALU_DEP_3)
	v_add_co_u32 v0, s0, s8, v2
	s_wait_alu 0xf1ff
	v_add_co_ci_u32_e64 v1, s0, s9, v3, s0
	v_lshl_add_u32 v23, v4, 2, 0
	v_add_co_u32 v6, s0, v0, v6
	s_wait_alu 0xf1ff
	s_delay_alu instid0(VALU_DEP_3)
	v_add_co_ci_u32_e64 v7, s0, v1, v7, s0
	s_mov_b32 s2, exec_lo
	v_add_nc_u32_e32 v26, 0x800, v23
	s_clause 0xf
	global_load_b32 v8, v[6:7], off
	global_load_b32 v9, v[6:7], off offset:204
	global_load_b32 v10, v[6:7], off offset:408
	;; [unrolled: 1-line block ×15, first 2 shown]
	v_dual_mov_b32 v6, v5 :: v_dual_add_nc_u32 v25, 0x600, v23
	v_dual_mov_b32 v5, v4 :: v_dual_add_nc_u32 v24, 0x400, v23
	s_wait_loadcnt 0xe
	ds_store_2addr_b32 v23, v8, v9 offset1:51
	s_wait_loadcnt 0xc
	ds_store_2addr_b32 v23, v10, v11 offset0:102 offset1:153
	s_wait_loadcnt 0xa
	ds_store_2addr_b32 v23, v12, v13 offset0:204 offset1:255
	;; [unrolled: 2-line block ×7, first 2 shown]
	v_cmpx_eq_u32_e32 50, v4
	s_cbranch_execz .LBB0_12
; %bb.11:
	global_load_b32 v0, v[0:1], off offset:3264
	v_dual_mov_b32 v5, 50 :: v_dual_mov_b32 v4, 50
	v_dual_mov_b32 v1, 0 :: v_dual_mov_b32 v6, 0
	s_wait_loadcnt 0x0
	ds_store_b32 v1, v0 offset:3264
.LBB0_12:
	s_wait_alu 0xfffe
	s_or_b32 exec_lo, exec_lo, s2
	v_mov_b32_e32 v0, v4
	v_mov_b32_e32 v4, v5
	;; [unrolled: 1-line block ×3, first 2 shown]
.LBB0_13:
	s_wait_alu 0xfffe
	s_or_b32 exec_lo, exec_lo, s1
	v_lshlrev_b32_e32 v1, 2, v0
	global_wb scope:SCOPE_SE
	s_wait_dscnt 0x0
	s_barrier_signal -1
	s_barrier_wait -1
	global_inv scope:SCOPE_SE
	v_add_nc_u32_e32 v24, 0, v1
	v_sub_nc_u32_e32 v8, 0, v1
	v_lshlrev_b64_e32 v[4:5], 2, v[4:5]
	s_mov_b32 s1, exec_lo
	ds_load_u16 v1, v24
	ds_load_u16 v6, v8 offset:3264
	s_wait_dscnt 0x0
	v_add_f16_e32 v9, v6, v1
	v_sub_f16_e32 v10, v1, v6
	v_cmpx_ne_u32_e32 0, v0
	s_wait_alu 0xfffe
	s_xor_b32 s1, exec_lo, s1
	s_cbranch_execz .LBB0_15
; %bb.14:
	v_add_co_u32 v9, s0, s4, v4
	s_wait_alu 0xf1ff
	v_add_co_ci_u32_e64 v10, s0, s5, v5, s0
	v_add_f16_e32 v11, v6, v1
	v_sub_f16_e32 v1, v1, v6
	global_load_b32 v7, v[9:10], off offset:3196
	ds_load_u16 v9, v8 offset:3266
	ds_load_u16 v10, v24 offset:2
	s_wait_dscnt 0x0
	v_add_f16_e32 v6, v9, v10
	v_sub_f16_e32 v9, v10, v9
	s_wait_loadcnt 0x0
	v_lshrrev_b32_e32 v12, 16, v7
	s_delay_alu instid0(VALU_DEP_1) | instskip(NEXT) | instid1(VALU_DEP_3)
	v_fma_f16 v13, -v1, v12, v11
	v_fma_f16 v14, v6, v12, -v9
	v_fma_f16 v11, v1, v12, v11
	v_fma_f16 v10, v6, v12, v9
	s_delay_alu instid0(VALU_DEP_4) | instskip(NEXT) | instid1(VALU_DEP_4)
	v_fmac_f16_e32 v13, v7, v6
	v_fmac_f16_e32 v14, v1, v7
	s_delay_alu instid0(VALU_DEP_4) | instskip(NEXT) | instid1(VALU_DEP_4)
	v_fma_f16 v9, -v7, v6, v11
	v_fmac_f16_e32 v10, v1, v7
	s_delay_alu instid0(VALU_DEP_3)
	v_pack_b32_f16 v6, v13, v14
	ds_store_b32 v8, v6 offset:3264
.LBB0_15:
	s_wait_alu 0xfffe
	s_and_not1_saveexec_b32 s0, s1
	s_cbranch_execz .LBB0_17
; %bb.16:
	v_mov_b32_e32 v1, 0
	ds_load_b32 v6, v1 offset:1632
	s_wait_dscnt 0x0
	v_pk_mul_f16 v6, 0xc0004000, v6
	ds_store_b32 v1, v6 offset:1632
.LBB0_17:
	s_wait_alu 0xfffe
	s_or_b32 exec_lo, exec_lo, s0
	v_dual_mov_b32 v1, 0 :: v_dual_add_nc_u32 v26, 0x800, v24
	s_add_nc_u64 s[0:1], s[4:5], 0xc7c
	v_perm_b32 v9, v10, v9, 0x5040100
	v_add_nc_u32_e32 v27, 0x400, v24
	s_delay_alu instid0(VALU_DEP_3) | instskip(SKIP_2) | instid1(VALU_DEP_2)
	v_lshlrev_b64_e32 v[6:7], 2, v[0:1]
	v_add_nc_u32_e32 v28, 0x600, v24
	s_wait_alu 0xfffe
	v_add_co_u32 v11, s0, s0, v6
	s_wait_alu 0xf1ff
	s_delay_alu instid0(VALU_DEP_3)
	v_add_co_ci_u32_e64 v12, s0, s1, v7, s0
	s_mov_b32 s1, exec_lo
	s_clause 0x5
	global_load_b32 v1, v[11:12], off offset:204
	global_load_b32 v13, v[11:12], off offset:408
	;; [unrolled: 1-line block ×6, first 2 shown]
	ds_store_b32 v24, v9
	global_load_b32 v9, v[11:12], off offset:1428
	ds_load_b32 v10, v24 offset:204
	ds_load_b32 v11, v8 offset:3060
	s_wait_dscnt 0x1
	v_lshrrev_b32_e32 v12, 16, v10
	s_wait_dscnt 0x0
	v_lshrrev_b32_e32 v18, 16, v11
	v_add_f16_e32 v19, v10, v11
	v_sub_f16_e32 v10, v10, v11
	s_delay_alu instid0(VALU_DEP_3) | instskip(SKIP_3) | instid1(VALU_DEP_1)
	v_add_f16_e32 v11, v18, v12
	v_sub_f16_e32 v12, v12, v18
	s_wait_loadcnt 0x6
	v_lshrrev_b32_e32 v20, 16, v1
	v_fma_f16 v18, v10, v20, v19
	s_delay_alu instid0(VALU_DEP_3) | instskip(SKIP_2) | instid1(VALU_DEP_4)
	v_fma_f16 v21, v11, v20, v12
	v_fma_f16 v19, -v10, v20, v19
	v_fma_f16 v12, v11, v20, -v12
	v_fma_f16 v18, -v1, v11, v18
	s_delay_alu instid0(VALU_DEP_4) | instskip(NEXT) | instid1(VALU_DEP_4)
	v_fmac_f16_e32 v21, v10, v1
	v_fmac_f16_e32 v19, v1, v11
	s_delay_alu instid0(VALU_DEP_4) | instskip(NEXT) | instid1(VALU_DEP_3)
	v_fmac_f16_e32 v12, v10, v1
	v_pack_b32_f16 v1, v18, v21
	s_wait_loadcnt 0x5
	v_lshrrev_b32_e32 v18, 16, v13
	s_delay_alu instid0(VALU_DEP_3)
	v_pack_b32_f16 v10, v19, v12
	ds_store_b32 v24, v1 offset:204
	ds_store_b32 v8, v10 offset:3060
	ds_load_b32 v1, v24 offset:408
	ds_load_b32 v10, v8 offset:2856
	s_wait_dscnt 0x1
	v_lshrrev_b32_e32 v11, 16, v1
	s_wait_dscnt 0x0
	v_lshrrev_b32_e32 v12, 16, v10
	v_add_f16_e32 v19, v1, v10
	v_sub_f16_e32 v1, v1, v10
	s_delay_alu instid0(VALU_DEP_3) | instskip(SKIP_1) | instid1(VALU_DEP_3)
	v_add_f16_e32 v10, v12, v11
	v_sub_f16_e32 v11, v11, v12
	v_fma_f16 v12, v1, v18, v19
	v_fma_f16 v19, -v1, v18, v19
	s_delay_alu instid0(VALU_DEP_3) | instskip(SKIP_1) | instid1(VALU_DEP_4)
	v_fma_f16 v20, v10, v18, v11
	v_fma_f16 v11, v10, v18, -v11
	v_fma_f16 v12, -v13, v10, v12
	s_delay_alu instid0(VALU_DEP_4) | instskip(NEXT) | instid1(VALU_DEP_4)
	v_fmac_f16_e32 v19, v13, v10
	v_fmac_f16_e32 v20, v1, v13
	s_delay_alu instid0(VALU_DEP_4) | instskip(SKIP_2) | instid1(VALU_DEP_3)
	v_fmac_f16_e32 v11, v1, v13
	s_wait_loadcnt 0x4
	v_lshrrev_b32_e32 v13, 16, v14
	v_pack_b32_f16 v1, v12, v20
	s_delay_alu instid0(VALU_DEP_3)
	v_pack_b32_f16 v10, v19, v11
	ds_store_b32 v24, v1 offset:408
	ds_store_b32 v8, v10 offset:2856
	ds_load_b32 v1, v24 offset:612
	ds_load_b32 v10, v8 offset:2652
	s_wait_dscnt 0x1
	v_lshrrev_b32_e32 v11, 16, v1
	s_wait_dscnt 0x0
	v_lshrrev_b32_e32 v12, 16, v10
	v_add_f16_e32 v18, v1, v10
	v_sub_f16_e32 v1, v1, v10
	s_delay_alu instid0(VALU_DEP_3) | instskip(SKIP_1) | instid1(VALU_DEP_3)
	v_add_f16_e32 v10, v12, v11
	v_sub_f16_e32 v11, v11, v12
	v_fma_f16 v12, v1, v13, v18
	v_fma_f16 v18, -v1, v13, v18
	s_delay_alu instid0(VALU_DEP_3) | instskip(SKIP_1) | instid1(VALU_DEP_4)
	v_fma_f16 v19, v10, v13, v11
	v_fma_f16 v11, v10, v13, -v11
	v_fma_f16 v12, -v14, v10, v12
	s_delay_alu instid0(VALU_DEP_4) | instskip(SKIP_4) | instid1(VALU_DEP_2)
	v_fmac_f16_e32 v18, v14, v10
	s_wait_loadcnt 0x3
	v_lshrrev_b32_e32 v13, 16, v15
	v_fmac_f16_e32 v19, v1, v14
	v_fmac_f16_e32 v11, v1, v14
	v_pack_b32_f16 v1, v12, v19
	s_delay_alu instid0(VALU_DEP_2)
	v_pack_b32_f16 v10, v18, v11
	ds_store_b32 v24, v1 offset:612
	ds_store_b32 v8, v10 offset:2652
	ds_load_b32 v1, v24 offset:816
	ds_load_b32 v10, v8 offset:2448
	s_wait_dscnt 0x1
	v_lshrrev_b32_e32 v11, 16, v1
	s_wait_dscnt 0x0
	v_lshrrev_b32_e32 v12, 16, v10
	v_add_f16_e32 v14, v1, v10
	v_sub_f16_e32 v1, v1, v10
	s_delay_alu instid0(VALU_DEP_3) | instskip(SKIP_1) | instid1(VALU_DEP_3)
	v_add_f16_e32 v10, v12, v11
	v_sub_f16_e32 v11, v11, v12
	v_fma_f16 v12, v1, v13, v14
	v_fma_f16 v14, -v1, v13, v14
	s_delay_alu instid0(VALU_DEP_3) | instskip(SKIP_1) | instid1(VALU_DEP_4)
	v_fma_f16 v18, v10, v13, v11
	v_fma_f16 v11, v10, v13, -v11
	v_fma_f16 v12, -v15, v10, v12
	s_delay_alu instid0(VALU_DEP_4) | instskip(SKIP_4) | instid1(VALU_DEP_2)
	v_fmac_f16_e32 v14, v15, v10
	s_wait_loadcnt 0x2
	v_lshrrev_b32_e32 v13, 16, v16
	v_fmac_f16_e32 v18, v1, v15
	v_fmac_f16_e32 v11, v1, v15
	v_pack_b32_f16 v1, v12, v18
	s_delay_alu instid0(VALU_DEP_2)
	;; [unrolled: 28-line block ×4, first 2 shown]
	v_pack_b32_f16 v10, v14, v11
	ds_store_b32 v24, v1 offset:1224
	ds_store_b32 v8, v10 offset:2040
	ds_load_b32 v1, v24 offset:1428
	ds_load_b32 v10, v8 offset:1836
	s_wait_dscnt 0x1
	v_lshrrev_b32_e32 v11, 16, v1
	s_wait_dscnt 0x0
	v_lshrrev_b32_e32 v12, 16, v10
	v_add_f16_e32 v14, v1, v10
	v_sub_f16_e32 v1, v1, v10
	s_delay_alu instid0(VALU_DEP_3) | instskip(SKIP_1) | instid1(VALU_DEP_3)
	v_add_f16_e32 v10, v12, v11
	v_sub_f16_e32 v11, v11, v12
	v_fma_f16 v12, v1, v13, v14
	v_fma_f16 v14, -v1, v13, v14
	s_delay_alu instid0(VALU_DEP_3) | instskip(SKIP_1) | instid1(VALU_DEP_4)
	v_fma_f16 v15, v10, v13, v11
	v_fma_f16 v11, v10, v13, -v11
	v_fma_f16 v12, -v9, v10, v12
	s_delay_alu instid0(VALU_DEP_4) | instskip(NEXT) | instid1(VALU_DEP_4)
	v_fmac_f16_e32 v14, v9, v10
	v_fmac_f16_e32 v15, v1, v9
	s_delay_alu instid0(VALU_DEP_4) | instskip(NEXT) | instid1(VALU_DEP_2)
	v_fmac_f16_e32 v11, v1, v9
	v_pack_b32_f16 v1, v12, v15
	s_delay_alu instid0(VALU_DEP_2)
	v_pack_b32_f16 v9, v14, v11
	ds_store_b32 v24, v1 offset:1428
	ds_store_b32 v8, v9 offset:1836
	global_wb scope:SCOPE_SE
	s_wait_dscnt 0x0
	s_barrier_signal -1
	s_barrier_wait -1
	global_inv scope:SCOPE_SE
	global_wb scope:SCOPE_SE
	s_barrier_signal -1
	s_barrier_wait -1
	global_inv scope:SCOPE_SE
	ds_load_2addr_b32 v[8:9], v24 offset1:48
	ds_load_b32 v41, v24 offset:3072
	ds_load_2addr_b32 v[10:11], v26 offset0:160 offset1:208
	ds_load_2addr_b32 v[22:23], v24 offset0:96 offset1:144
	;; [unrolled: 1-line block ×7, first 2 shown]
	global_wb scope:SCOPE_SE
	s_wait_dscnt 0x0
	s_barrier_signal -1
	s_barrier_wait -1
	global_inv scope:SCOPE_SE
	v_lshrrev_b32_e32 v62, 16, v8
	v_pk_add_f16 v40, v9, v41 neg_lo:[0,1] neg_hi:[0,1]
	v_pk_add_f16 v45, v41, v9
	v_pk_add_f16 v35, v22, v11 neg_lo:[0,1] neg_hi:[0,1]
	v_pk_add_f16 v44, v11, v22
	v_pk_add_f16 v34, v23, v10 neg_lo:[0,1] neg_hi:[0,1]
	v_pk_mul_f16 v1, 0xb5c8, v40 op_sel_hi:[0,1]
	v_pk_add_f16 v43, v10, v23
	v_pk_mul_f16 v25, 0xb964, v35 op_sel_hi:[0,1]
	v_pk_add_f16 v33, v20, v13 neg_lo:[0,1] neg_hi:[0,1]
	v_pk_mul_f16 v46, 0xbb29, v34 op_sel_hi:[0,1]
	v_pk_fma_f16 v56, 0x3b76, v45, v1 op_sel:[0,0,1] op_sel_hi:[0,1,0]
	v_pk_fma_f16 v60, 0x3b76, v45, v1 op_sel:[0,0,1] op_sel_hi:[0,1,0] neg_lo:[0,0,1] neg_hi:[0,0,1]
	v_pk_fma_f16 v58, 0x39e9, v44, v25 op_sel:[0,0,1] op_sel_hi:[0,1,0]
	v_pk_add_f16 v42, v13, v20
	v_pk_add_f16 v32, v21, v12 neg_lo:[0,1] neg_hi:[0,1]
	v_lshrrev_b32_e32 v1, 16, v56
	v_pk_mul_f16 v47, 0xbbf7, v33 op_sel_hi:[0,1]
	v_pk_fma_f16 v61, 0x39e9, v44, v25 op_sel:[0,0,1] op_sel_hi:[0,1,0] neg_lo:[0,0,1] neg_hi:[0,0,1]
	v_pk_fma_f16 v48, 0x3722, v43, v46 op_sel:[0,0,1] op_sel_hi:[0,1,0]
	v_add_f16_e32 v25, v8, v60
	v_lshrrev_b32_e32 v50, 16, v58
	v_add_f16_e32 v1, v62, v1
	v_pk_add_f16 v39, v12, v21
	v_pk_add_f16 v31, v18, v15 neg_lo:[0,1] neg_hi:[0,1]
	v_pk_mul_f16 v51, 0xbbb2, v32 op_sel_hi:[0,1]
	v_pk_fma_f16 v53, 0x3722, v43, v46 op_sel:[0,0,1] op_sel_hi:[0,1,0] neg_lo:[0,0,1] neg_hi:[0,0,1]
	v_pk_fma_f16 v49, 0x2de8, v42, v47 op_sel:[0,0,1] op_sel_hi:[0,1,0]
	v_lshrrev_b32_e32 v46, 16, v48
	v_add_f16_e32 v25, v61, v25
	v_add_f16_e32 v1, v50, v1
	v_pk_add_f16 v38, v15, v18
	v_pk_add_f16 v30, v19, v14 neg_lo:[0,1] neg_hi:[0,1]
	v_pk_mul_f16 v52, 0xba62, v31 op_sel_hi:[0,1]
	v_pk_fma_f16 v54, 0x2de8, v42, v47 op_sel:[0,0,1] op_sel_hi:[0,1,0] neg_lo:[0,0,1] neg_hi:[0,0,1]
	v_pk_fma_f16 v50, 0xb461, v39, v51 op_sel:[0,0,1] op_sel_hi:[0,1,0]
	v_lshrrev_b32_e32 v47, 16, v49
	v_add_f16_e32 v25, v53, v25
	;; [unrolled: 8-line block ×3, first 2 shown]
	v_add_f16_e32 v1, v47, v1
	v_pk_add_f16 v36, v17, v16
	v_pk_mul_f16 v63, 0xb1e1, v29 op_sel_hi:[0,1]
	v_pk_fma_f16 v57, 0xb8d2, v38, v52 op_sel:[0,0,1] op_sel_hi:[0,1,0] neg_lo:[0,0,1] neg_hi:[0,0,1]
	v_pk_fma_f16 v52, 0xbacd, v37, v59 op_sel:[0,0,1] op_sel_hi:[0,1,0]
	v_lshrrev_b32_e32 v47, 16, v51
	v_add_f16_e32 v25, v55, v25
	v_add_f16_e32 v1, v46, v1
	v_pk_fma_f16 v59, 0xbacd, v37, v59 op_sel:[0,0,1] op_sel_hi:[0,1,0] neg_lo:[0,0,1] neg_hi:[0,0,1]
	v_pk_fma_f16 v46, 0xbbdd, v36, v63 op_sel:[0,0,1] op_sel_hi:[0,1,0]
	v_lshrrev_b32_e32 v64, 16, v52
	v_add_f16_e32 v25, v57, v25
	v_add_f16_e32 v1, v47, v1
	v_pk_fma_f16 v47, 0xbbdd, v36, v63 op_sel:[0,0,1] op_sel_hi:[0,1,0] neg_lo:[0,0,1] neg_hi:[0,0,1]
	v_lshrrev_b32_e32 v63, 16, v46
	s_delay_alu instid0(VALU_DEP_4) | instskip(NEXT) | instid1(VALU_DEP_4)
	v_add_f16_e32 v25, v59, v25
	v_add_f16_e32 v64, v64, v1
	s_delay_alu instid0(VALU_DEP_2) | instskip(NEXT) | instid1(VALU_DEP_2)
	v_add_f16_e32 v1, v47, v25
	v_add_f16_e32 v25, v63, v64
	v_cmpx_gt_u32_e32 48, v0
	s_cbranch_execz .LBB0_19
; %bb.18:
	v_mul_f16_e32 v71, 0xb964, v40
	v_lshrrev_b32_e32 v72, 16, v45
	v_mul_f16_e32 v69, 0xbbf7, v35
	v_lshrrev_b32_e32 v70, 16, v44
	;; [unrolled: 2-line block ×3, first 2 shown]
	v_fmamk_f16 v64, v72, 0x39e9, v71
	v_lshrrev_b32_e32 v88, 16, v40
	v_fmamk_f16 v73, v70, 0x2de8, v69
	v_mul_f16_e32 v63, 0xb1e1, v33
	v_lshrrev_b32_e32 v65, 16, v42
	v_add_f16_e32 v74, v62, v64
	v_fmamk_f16 v75, v68, 0xb8d2, v67
	v_lshrrev_b32_e32 v89, 16, v35
	v_mul_f16_e32 v81, 0xb964, v88
	v_mul_f16_e32 v64, 0x3836, v32
	v_add_f16_e32 v74, v73, v74
	v_lshrrev_b32_e32 v66, 16, v39
	v_fmamk_f16 v76, v65, 0xbbdd, v63
	v_mul_f16_e32 v78, 0xbbf7, v89
	v_fma_f16 v79, v45, 0x39e9, -v81
	v_add_f16_e32 v75, v75, v74
	v_lshrrev_b32_e32 v90, 16, v34
	v_fmamk_f16 v77, v66, 0xbacd, v64
	v_fma_f16 v84, v44, 0x2de8, -v78
	v_add_f16_e32 v79, v8, v79
	v_add_f16_e32 v75, v76, v75
	v_mul_f16_e32 v83, 0xba62, v90
	v_lshrrev_b32_e32 v91, 16, v33
	v_mul_f16_e32 v73, 0x3bb2, v31
	v_lshrrev_b32_e32 v74, 16, v38
	v_add_f16_e32 v75, v77, v75
	v_add_f16_e32 v77, v84, v79
	v_fma_f16 v79, v43, 0xb8d2, -v83
	v_mul_f16_e32 v84, 0xb1e1, v91
	v_lshrrev_b32_e32 v85, 16, v32
	v_fmamk_f16 v76, v74, 0xb461, v73
	v_mul_f16_e32 v80, 0x3b29, v30
	v_lshrrev_b32_e32 v82, 16, v37
	v_add_f16_e32 v79, v79, v77
	v_fma_f16 v87, v42, 0xbbdd, -v84
	v_mul_f16_e32 v77, 0x3836, v85
	v_lshrrev_b32_e32 v86, 16, v31
	v_mul_f16_e32 v97, 0xbb29, v40
	v_add_f16_e32 v92, v76, v75
	v_fmamk_f16 v93, v82, 0x3722, v80
	v_mul_f16_e32 v75, 0x35c8, v29
	v_lshrrev_b32_e32 v76, 16, v36
	v_add_f16_e32 v94, v87, v79
	v_fma_f16 v95, v39, 0xbacd, -v77
	v_mul_f16_e32 v79, 0x3bb2, v86
	v_lshrrev_b32_e32 v87, 16, v30
	v_fmamk_f16 v98, v72, 0x3722, v97
	v_mul_f16_e32 v99, 0xba62, v35
	v_add_f16_e32 v93, v93, v92
	v_fmamk_f16 v96, v76, 0x3b76, v75
	v_add_f16_e32 v94, v95, v94
	v_fma_f16 v95, v38, 0xb461, -v79
	v_mul_f16_e32 v92, 0x3b29, v87
	v_lshrrev_b32_e32 v116, 16, v29
	v_add_f16_e32 v98, v62, v98
	v_fmamk_f16 v102, v70, 0xb8d2, v99
	v_mul_f16_e32 v100, 0x31e1, v34
	v_pk_add_f16 v101, v8, v9
	v_add_f16_e32 v9, v96, v93
	v_add_f16_e32 v94, v95, v94
	v_fma_f16 v95, v37, 0x3722, -v92
	v_add_f16_e32 v98, v102, v98
	v_fmamk_f16 v102, v68, 0xbbdd, v100
	v_mul_f16_e32 v96, 0x3bb2, v33
	v_mul_f16_e32 v93, 0x35c8, v116
	v_pk_add_f16 v22, v101, v22
	v_add_f16_e32 v94, v95, v94
	v_add_f16_e32 v95, v102, v98
	v_fmamk_f16 v101, v65, 0xb461, v96
	v_mul_f16_e32 v98, 0x3964, v32
	v_fma_f16 v104, v36, 0x3b76, -v93
	v_mul_f16_e32 v103, 0xbb29, v88
	v_pk_add_f16 v23, v22, v23
	v_add_f16_e32 v95, v101, v95
	v_fmamk_f16 v101, v66, 0x39e9, v98
	v_mul_f16_e32 v102, 0xb5c8, v31
	v_add_f16_e32 v22, v104, v94
	v_fma_f16 v94, v45, 0x3722, -v103
	v_mul_f16_e32 v104, 0xba62, v89
	v_add_f16_e32 v95, v101, v95
	v_fmamk_f16 v106, v74, 0x3b76, v102
	v_mul_f16_e32 v101, 0xbbf7, v30
	v_add_f16_e32 v94, v8, v94
	v_fma_f16 v107, v44, 0xb8d2, -v104
	v_mul_f16_e32 v105, 0x31e1, v90
	v_pk_add_f16 v20, v23, v20
	v_add_f16_e32 v23, v106, v95
	v_fmamk_f16 v108, v82, 0x2de8, v101
	v_add_f16_e32 v94, v107, v94
	v_fma_f16 v107, v43, 0xbbdd, -v105
	v_mul_f16_e32 v106, 0x3bb2, v91
	v_mul_f16_e32 v117, 0xbbf7, v40
	v_pk_add_f16 v95, v20, v21
	v_add_f16_e32 v20, v108, v23
	v_add_f16_e32 v21, v107, v94
	v_fma_f16 v23, v42, 0xb461, -v106
	v_mul_f16_e32 v109, 0x3964, v85
	v_fmamk_f16 v94, v72, 0x2de8, v117
	v_mul_f16_e32 v118, 0xb1e1, v35
	v_mul_f16_e32 v110, 0xb5c8, v86
	v_add_f16_e32 v21, v23, v21
	v_fma_f16 v23, v39, 0x39e9, -v109
	v_add_f16_e32 v94, v62, v94
	v_fmamk_f16 v111, v70, 0xbbdd, v118
	v_mul_f16_e32 v119, 0x3bb2, v34
	v_mul_f16_e32 v108, 0xbbf7, v87
	v_add_f16_e32 v21, v23, v21
	v_fma_f16 v23, v38, 0x3b76, -v110
	v_add_f16_e32 v94, v111, v94
	;; [unrolled: 6-line block ×3, first 2 shown]
	v_fmamk_f16 v111, v65, 0x3b76, v120
	v_mul_f16_e32 v122, 0xbbf7, v88
	v_mul_f16_e32 v107, 0xb836, v29
	v_add_f16_e32 v21, v23, v21
	v_mul_f16_e32 v123, 0xb836, v31
	v_add_f16_e32 v23, v111, v94
	v_fmamk_f16 v94, v66, 0x3722, v121
	v_fma_f16 v111, v45, 0x2de8, -v122
	v_mul_f16_e32 v124, 0xb1e1, v89
	v_fmamk_f16 v112, v76, 0xbacd, v107
	v_mul_f16_e32 v125, 0x3a62, v30
	v_add_f16_e32 v23, v94, v23
	v_fmamk_f16 v94, v74, 0xbacd, v123
	v_add_f16_e32 v111, v8, v111
	v_fma_f16 v113, v44, 0xbbdd, -v124
	v_mul_f16_e32 v126, 0x3bb2, v90
	v_add_f16_e32 v20, v112, v20
	v_mul_f16_e32 v112, 0xb836, v116
	v_add_f16_e32 v23, v94, v23
	v_fmamk_f16 v94, v82, 0xb8d2, v125
	v_add_f16_e32 v111, v113, v111
	v_fma_f16 v113, v43, 0xb461, -v126
	v_mul_f16_e32 v115, 0x35c8, v91
	v_mul_f16_e32 v127, 0xbbb2, v40
	v_fma_f16 v114, v36, 0xbacd, -v112
	v_add_f16_e32 v23, v94, v23
	v_add_f16_e32 v94, v113, v111
	v_fma_f16 v111, v42, 0x3b76, -v115
	v_mul_f16_e64 v128, 0xbb29, v85
	v_fmamk_f16 v113, v72, 0xb461, v127
	v_mul_f16_e64 v130, 0x3836, v35
	v_add_f16_e32 v21, v114, v21
	v_mul_f16_e64 v129, 0x3964, v29
	v_add_f16_e32 v94, v111, v94
	v_fma_f16 v111, v39, 0x3722, -v128
	v_mul_f16_e64 v131, 0xb836, v86
	v_add_f16_e32 v113, v62, v113
	v_fma_f16 v114, 0xbacd, v70, v130
	v_mul_f16_e64 v132, 0x3964, v34
	v_add_f16_e32 v94, v111, v94
	v_fma_f16 v111, v38, 0xbacd, -v131
	v_mul_f16_e64 v133, 0x3a62, v87
	v_add_f16_e32 v113, v114, v113
	v_fma_f16 v114, 0x39e9, v68, v132
	v_mul_f16_e64 v134, 0xbb29, v33
	v_fma_f16 v135, 0x39e9, v76, v129
	v_add_f16_e32 v94, v111, v94
	v_fma_f16 v111, v37, 0xb8d2, -v133
	v_add_f16_e32 v113, v114, v113
	v_fma_f16 v114, 0x3722, v65, v134
	v_mul_f16_e64 v136, 0xb1e1, v32
	v_add_f16_e64 v23, v135, v23
	v_mul_f16_e64 v135, 0xbbb2, v88
	v_add_f16_e32 v94, v111, v94
	v_add_f16_e32 v111, v114, v113
	v_fma_f16 v113, 0xbbdd, v66, v136
	v_mul_f16_e64 v137, 0x3bf7, v31
	v_mul_f16_e64 v138, 0x3964, v116
	v_fma_f16 v114, v45, 0xb461, -v135
	v_mul_f16_e64 v139, 0x3836, v89
	v_add_f16_e32 v111, v113, v111
	v_fma_f16 v113, 0x2de8, v74, v137
	v_mul_f16_e64 v140, 0xb5c8, v30
	v_add_f16_e32 v114, v8, v114
	v_fma_f16 v141, v44, 0xbacd, -v139
	v_mul_f16_e64 v142, 0x3964, v90
	v_fma_f16 v143, v36, 0x39e9, -v138
	v_add_f16_e32 v111, v113, v111
	v_fma_f16 v113, 0x3b76, v82, v140
	v_add_f16_e64 v114, v141, v114
	v_fma_f16 v141, v43, 0x39e9, -v142
	v_mul_f16_e64 v144, 0xbb29, v91
	v_add_f16_e64 v94, v143, v94
	v_mul_f16_e64 v143, 0xba62, v40
	v_add_f16_e32 v111, v113, v111
	v_add_f16_e64 v113, v141, v114
	v_fma_f16 v114, v42, 0x3722, -v144
	v_mul_f16_e64 v141, 0xb1e1, v85
	v_fma_f16 v146, 0xb8d2, v72, v143
	v_mul_f16_e64 v147, 0x3bb2, v35
	v_mul_f16_e64 v145, 0xba62, v29
	v_add_f16_e32 v113, v114, v113
	v_fma_f16 v114, v39, 0xbbdd, -v141
	v_mul_f16_e64 v148, 0x3bf7, v86
	v_add_f16_e64 v146, v62, v146
	v_fma_f16 v149, 0xb461, v70, v147
	v_mul_f16_e64 v150, 0xb5c8, v34
	v_add_f16_e32 v113, v114, v113
	v_fma_f16 v114, v38, 0x2de8, -v148
	v_mul_f16_e64 v151, 0xb5c8, v87
	v_add_f16_e64 v146, v149, v146
	v_fma_f16 v149, 0x3b76, v68, v150
	v_mul_f16_e64 v152, 0xb836, v33
	v_fma_f16 v153, 0xb8d2, v76, v145
	v_add_f16_e32 v113, v114, v113
	v_fma_f16 v114, v37, 0x3b76, -v151
	v_add_f16_e64 v146, v149, v146
	v_fma_f16 v149, 0xbacd, v65, v152
	v_mul_f16_e64 v154, 0x3bf7, v32
	v_add_f16_e64 v111, v153, v111
	v_mul_f16_e64 v153, 0xba62, v88
	v_add_f16_e32 v113, v114, v113
	v_add_f16_e64 v114, v149, v146
	v_fma_f16 v146, 0x2de8, v66, v154
	v_mul_f16_e64 v149, 0xb964, v31
	v_fma_f16 v155, v45, 0xb8d2, -v153
	v_mul_f16_e64 v156, 0x3bb2, v89
	v_mul_f16_e64 v157, 0xba62, v116
	v_add_f16_e64 v114, v146, v114
	v_fma_f16 v146, 0x39e9, v74, v149
	v_add_f16_e64 v155, v8, v155
	v_fma_f16 v158, v44, 0xb461, -v156
	v_mul_f16_e64 v159, 0xb5c8, v90
	v_fma_f16 v160, v36, 0xb8d2, -v157
	v_mul_f16_e64 v161, 0xb1e1, v30
	v_add_f16_e64 v114, v146, v114
	v_add_f16_e64 v146, v158, v155
	v_fma_f16 v155, v43, 0x3b76, -v159
	v_mul_f16_e64 v158, 0xb836, v91
	v_fma_f16 v162, 0xbbdd, v82, v161
	v_mul_f16_e64 v163, 0x3b29, v29
	v_add_f16_e64 v113, v160, v113
	v_add_f16_e64 v146, v155, v146
	v_fma_f16 v155, v42, 0xbacd, -v158
	v_mul_f16_e64 v160, 0x3bf7, v85
	v_add_f16_e64 v114, v162, v114
	v_fma_f16 v162, 0x3722, v76, v163
	v_mul_f16_e64 v164, 0xb836, v40
	v_add_f16_e64 v146, v155, v146
	v_fma_f16 v155, v39, 0x2de8, -v160
	v_mul_f16_e64 v165, 0xb964, v86
	v_add_f16_e64 v114, v162, v114
	v_fma_f16 v162, 0xbacd, v72, v164
	v_mul_f16_e64 v166, 0x3b29, v35
	;; [unrolled: 6-line block ×4, first 2 shown]
	v_add_f16_e64 v146, v155, v146
	v_fma_f16 v155, v36, 0x3722, -v170
	v_mul_f16_e32 v88, 0xb836, v88
	v_add_f16_e64 v162, v168, v162
	v_fma_f16 v168, 0xb8d2, v65, v171
	v_mul_f16_e64 v172, 0xb5c8, v32
	v_add_f16_e64 v146, v155, v146
	v_fma_f16 v155, v45, 0xbacd, -v88
	v_mul_f16_e32 v89, 0x3b29, v89
	v_fmac_f16_e32 v88, 0xbacd, v45
	v_add_f16_e64 v162, v168, v162
	v_fma_f16 v168, 0x3b76, v66, v172
	v_mul_f16_e64 v173, 0xb1e1, v31
	v_add_f16_e64 v155, v8, v155
	v_fma_f16 v174, v44, 0x3722, -v89
	v_mul_f16_e32 v90, 0xbbf7, v90
	v_add_f16_e32 v88, v8, v88
	v_fmac_f16_e32 v89, 0x3722, v44
	v_fma_f16 v143, v72, 0xb8d2, -v143
	v_add_f16_e64 v162, v168, v162
	v_fma_f16 v168, 0xbbdd, v74, v173
	v_mul_f16_e64 v175, 0x3964, v30
	v_add_f16_e64 v155, v174, v155
	v_fma_f16 v174, v43, 0x2de8, -v90
	v_mul_f16_e32 v91, 0x3a62, v91
	v_add_f16_e32 v88, v89, v88
	v_fmac_f16_e32 v90, 0x2de8, v43
	v_add_f16_e64 v89, v62, v143
	v_fma_f16 v143, v70, 0xb461, -v147
	v_fma_f16 v97, v72, 0x3722, -v97
	v_add_f16_e64 v162, v168, v162
	v_fma_f16 v168, 0x39e9, v82, v175
	v_add_f16_e64 v155, v174, v155
	v_fma_f16 v174, v42, 0xb8d2, -v91
	v_mul_f16_e32 v85, 0xb5c8, v85
	v_add_f16_e32 v88, v90, v88
	v_fmac_f16_e32 v91, 0xb8d2, v42
	v_add_f16_e64 v89, v143, v89
	v_fma_f16 v90, v68, 0x3b76, -v150
	v_fmac_f16_e64 v153, 0xb8d2, v45
	v_add_f16_e32 v97, v62, v97
	v_fma_f16 v99, v70, 0xb8d2, -v99
	v_add_f16_e64 v162, v168, v162
	v_add_f16_e64 v155, v174, v155
	v_fma_f16 v168, v39, 0x3b76, -v85
	v_mul_f16_e32 v86, 0xb1e1, v86
	v_add_f16_e32 v88, v91, v88
	v_fmac_f16_e32 v85, 0x3b76, v39
	v_add_f16_e32 v89, v90, v89
	v_fma_f16 v90, v65, 0xbacd, -v152
	v_add_f16_e64 v91, v8, v153
	v_fmac_f16_e64 v156, 0xb461, v44
	v_add_f16_e32 v97, v99, v97
	v_fma_f16 v99, v68, 0xbbdd, -v100
	v_add_f16_e64 v155, v168, v155
	v_fma_f16 v168, v38, 0xbbdd, -v86
	v_mul_f16_e32 v87, 0x3964, v87
	v_add_f16_e32 v85, v85, v88
	v_fmac_f16_e32 v86, 0xbbdd, v38
	v_add_f16_e32 v88, v90, v89
	v_fma_f16 v89, v66, 0x2de8, -v154
	v_add_f16_e64 v90, v156, v91
	v_fmac_f16_e64 v159, 0x3b76, v43
	v_add_f16_e32 v97, v99, v97
	v_fma_f16 v96, v65, 0xb461, -v96
	;; [unrolled: 11-line block ×3, first 2 shown]
	v_fma_f16 v164, v72, 0xbacd, -v164
	v_add_f16_e64 v155, v168, v155
	v_fma_f16 v168, v36, 0xb461, -v116
	v_add_f16_e32 v85, v87, v85
	v_fmac_f16_e32 v116, 0xb461, v36
	v_add_f16_e32 v86, v88, v86
	v_fma_f16 v87, v82, 0xbbdd, -v161
	v_add_f16_e64 v88, v158, v89
	v_fmac_f16_e64 v160, 0x2de8, v39
	v_fma_f16 v89, v72, 0xb461, -v127
	v_fma_f16 v91, v72, 0x2de8, -v117
	v_add_f16_e32 v96, v97, v96
	v_fma_f16 v97, v74, 0x3b76, -v102
	v_fma_f16 v71, v72, 0x39e9, -v71
	v_add_f16_e64 v164, v62, v164
	v_fma_f16 v166, v70, 0x3722, -v166
	v_add_f16_e32 v85, v116, v85
	v_add_f16_e32 v86, v87, v86
	v_fma_f16 v87, v76, 0x3722, -v163
	v_add_f16_e64 v88, v160, v88
	v_fmac_f16_e64 v165, 0x39e9, v38
	v_add_f16_e32 v89, v62, v89
	v_fma_f16 v90, v70, 0xbacd, -v130
	v_add_f16_e32 v91, v62, v91
	v_fma_f16 v116, v70, 0xbbdd, -v118
	;; [unrolled: 2-line block ×4, first 2 shown]
	v_pk_add_f16 v18, v95, v18
	v_add_f16_e64 v164, v166, v164
	v_fma_f16 v166, v68, 0x2de8, -v169
	v_add_f16_e32 v86, v87, v86
	v_add_f16_e64 v87, v165, v88
	v_add_f16_e32 v88, v90, v89
	v_fma_f16 v89, v68, 0x39e9, -v132
	v_add_f16_e32 v91, v116, v91
	v_fma_f16 v116, v68, 0xb461, -v119
	v_add_f16_e32 v72, v97, v72
	v_add_f16_e32 v62, v69, v62
	v_fma_f16 v67, v68, 0xb8d2, -v67
	v_fma_f16 v68, v76, 0xbacd, -v107
	v_fmac_f16_e32 v81, 0x39e9, v45
	v_pk_add_f16 v18, v18, v19
	v_add_f16_e64 v164, v166, v164
	v_fma_f16 v166, v65, 0xb8d2, -v171
	v_add_f16_e32 v88, v89, v88
	v_fma_f16 v89, v65, 0x3722, -v134
	v_add_f16_e32 v91, v116, v91
	;; [unrolled: 2-line block ×4, first 2 shown]
	v_add_f16_e32 v68, v8, v81
	v_fmac_f16_e32 v78, 0x2de8, v44
	v_pk_add_f16 v16, v18, v16
	v_bfi_b32 v18, 0xffff, v56, v60
	v_add_f16_e32 v62, v63, v62
	v_fma_f16 v63, v66, 0xbacd, -v64
	v_add_f16_e32 v64, v78, v68
	v_fmac_f16_e32 v83, 0xb8d2, v43
	v_bfi_b32 v58, 0xffff, v58, v61
	v_pk_add_f16 v16, v16, v17
	v_pk_add_f16 v17, v8, v18
	v_fmac_f16_e64 v135, 0xb461, v45
	v_add_f16_e32 v62, v63, v62
	v_fma_f16 v63, v74, 0xb461, -v73
	v_add_f16_e32 v64, v83, v64
	v_fmac_f16_e32 v84, 0xbbdd, v42
	v_bfi_b32 v48, 0xffff, v48, v53
	v_pk_add_f16 v14, v16, v14
	v_pk_add_f16 v16, v58, v17
	v_add_f16_e64 v90, v8, v135
	v_fmac_f16_e64 v139, 0xbacd, v44
	v_add_f16_e32 v62, v63, v62
	v_fma_f16 v56, v82, 0x3722, -v80
	v_add_f16_e32 v60, v84, v64
	v_fmac_f16_e32 v77, 0xbacd, v39
	v_bfi_b32 v49, 0xffff, v49, v54
	v_pk_add_f16 v14, v14, v15
	v_pk_add_f16 v15, v48, v16
	v_add_f16_e64 v90, v139, v90
	v_fmac_f16_e64 v142, 0x39e9, v43
	v_add_f16_e32 v18, v56, v62
	v_add_f16_e32 v17, v77, v60
	v_fmac_f16_e32 v79, 0xb461, v38
	v_fma_f16 v16, v76, 0x3b76, -v75
	v_bfi_b32 v48, 0xffff, v50, v55
	v_pk_add_f16 v12, v14, v12
	v_pk_add_f16 v14, v49, v15
	v_add_f16_e32 v88, v89, v88
	v_fma_f16 v89, v66, 0xbbdd, -v136
	v_add_f16_e64 v90, v142, v90
	v_fmac_f16_e64 v144, 0x3722, v42
	v_add_f16_e32 v17, v79, v17
	v_fmac_f16_e32 v92, 0x3722, v37
	v_add_f16_e32 v15, v16, v18
	v_bfi_b32 v16, 0xffff, v51, v57
	v_pk_add_f16 v12, v12, v13
	v_pk_add_f16 v13, v48, v14
	v_add_f16_e32 v88, v89, v88
	v_fma_f16 v89, v74, 0x2de8, -v137
	v_add_f16_e64 v90, v144, v90
	v_fmac_f16_e64 v141, 0xbbdd, v39
	v_add_f16_e32 v14, v92, v17
	v_bfi_b32 v17, 0xffff, v52, v59
	v_pk_add_f16 v10, v12, v10
	v_pk_add_f16 v12, v16, v13
	v_pk_mul_f16 v13, 0xbbdd, v45 op_sel_hi:[0,1]
	v_add_f16_e32 v88, v89, v88
	v_fma_f16 v89, v82, 0x3b76, -v140
	v_add_f16_e64 v90, v141, v90
	v_fmac_f16_e64 v148, 0x2de8, v38
	v_bfi_b32 v16, 0xffff, v46, v47
	v_pk_add_f16 v10, v10, v11
	v_pk_add_f16 v11, v17, v12
	v_pk_fma_f16 v12, 0xb1e1, v40, v13 op_sel:[0,0,1] op_sel_hi:[0,1,0]
	s_wait_alu 0xf1ff
	v_alignbit_b32 v17, s0, v8, 16
	v_pk_mul_f16 v18, 0x3b76, v44 op_sel_hi:[0,1]
	v_fmac_f16_e32 v103, 0x3722, v45
	v_add_f16_e32 v88, v89, v88
	v_fma_f16 v89, v76, 0xb8d2, -v145
	v_add_f16_e64 v90, v148, v90
	v_fmac_f16_e64 v151, 0x3b76, v37
	v_add_f16_e32 v91, v116, v91
	v_fma_f16 v116, v66, 0x3722, -v121
	v_fmac_f16_e32 v122, 0x2de8, v45
	v_pk_add_f16 v10, v10, v41
	v_pk_add_f16 v11, v16, v11
	;; [unrolled: 1-line block ×3, first 2 shown]
	v_pk_fma_f16 v17, 0x35c8, v35, v18 op_sel:[0,0,1] op_sel_hi:[0,1,0]
	v_pk_mul_f16 v41, 0xbacd, v43 op_sel_hi:[0,1]
	v_pk_fma_f16 v13, 0xb1e1, v40, v13 op_sel:[0,0,1] op_sel_hi:[0,1,0] neg_lo:[0,1,0] neg_hi:[0,1,0]
	v_alignbit_b32 v12, s0, v12, 16
	v_add_f16_e32 v99, v8, v103
	v_fmac_f16_e32 v104, 0xb8d2, v44
	v_add_f16_e32 v88, v89, v88
	v_add_f16_e64 v89, v151, v90
	v_add_f16_e32 v90, v116, v91
	v_fma_f16 v91, v74, 0xbacd, -v123
	v_add_f16_e32 v116, v8, v122
	v_fmac_f16_e32 v124, 0xbbdd, v44
	v_fmac_f16_e32 v126, 0xb461, v43
	;; [unrolled: 1-line block ×5, first 2 shown]
	v_pk_fma_f16 v43, 0xb836, v34, v41 op_sel:[0,0,1] op_sel_hi:[0,1,0]
	v_pk_mul_f16 v42, 0x39e9, v42 op_sel_hi:[0,1]
	v_pk_add_f16 v13, v8, v13 op_sel:[1,0] op_sel_hi:[0,1]
	v_pk_fma_f16 v18, 0x35c8, v35, v18 op_sel:[0,0,1] op_sel_hi:[0,1,0] neg_lo:[0,1,0] neg_hi:[0,1,0]
	v_pk_add_f16 v8, v8, v12
	v_alignbit_b32 v12, s0, v17, 16
	v_add_f16_e32 v98, v104, v99
	v_add_f16_e32 v90, v91, v90
	v_fma_f16 v91, v82, 0xb8d2, -v125
	v_add_f16_e32 v116, v124, v116
	v_pk_add_f16 v16, v17, v16
	v_pk_fma_f16 v45, 0x3964, v33, v42 op_sel:[0,0,1] op_sel_hi:[0,1,0]
	v_pk_mul_f16 v17, 0xb8d2, v39 op_sel_hi:[0,1]
	v_pk_add_f16 v13, v18, v13
	v_pk_fma_f16 v18, 0xb836, v34, v41 op_sel:[0,0,1] op_sel_hi:[0,1,0] neg_lo:[0,1,0] neg_hi:[0,1,0]
	v_pk_add_f16 v8, v12, v8
	v_alignbit_b32 v12, s0, v43, 16
	v_add_f16_e32 v98, v105, v98
	v_add_f16_e32 v90, v91, v90
	v_fma_f16 v91, v76, 0x39e9, -v129
	v_add_f16_e32 v116, v126, v116
	v_pk_add_f16 v16, v43, v16
	v_pk_fma_f16 v34, 0xba62, v32, v17 op_sel:[0,0,1] op_sel_hi:[0,1,0]
	v_pk_mul_f16 v35, 0x3722, v38 op_sel_hi:[0,1]
	v_pk_add_f16 v13, v18, v13
	v_pk_fma_f16 v18, 0x3964, v33, v42 op_sel:[0,0,1] op_sel_hi:[0,1,0] neg_lo:[0,1,0] neg_hi:[0,1,0]
	v_pk_add_f16 v8, v12, v8
	v_alignbit_b32 v12, s0, v45, 16
	v_add_f16_e32 v96, v106, v98
	v_fmac_f16_e32 v109, 0x39e9, v39
	v_add_f16_e32 v90, v91, v90
	v_add_f16_e32 v91, v115, v116
	v_fmac_f16_e64 v128, 0x3722, v39
	v_add_f16_e64 v164, v166, v164
	v_fma_f16 v166, v66, 0x3b76, -v172
	v_pk_add_f16 v16, v45, v16
	v_pk_fma_f16 v33, 0x3b29, v31, v35 op_sel:[0,0,1] op_sel_hi:[0,1,0]
	v_pk_add_f16 v13, v18, v13
	v_pk_fma_f16 v17, 0xba62, v32, v17 op_sel:[0,0,1] op_sel_hi:[0,1,0] neg_lo:[0,1,0] neg_hi:[0,1,0]
	v_pk_add_f16 v8, v12, v8
	v_alignbit_b32 v12, s0, v34, 16
	v_pk_mul_f16 v18, 0xb461, v37 op_sel_hi:[0,1]
	v_add_f16_e32 v71, v109, v96
	v_fmac_f16_e32 v110, 0x3b76, v38
	v_add_f16_e64 v91, v128, v91
	v_fmac_f16_e64 v131, 0xbacd, v38
	v_add_f16_e64 v164, v166, v164
	v_fma_f16 v166, v74, 0xbbdd, -v173
	v_pk_add_f16 v16, v34, v16
	v_pk_add_f16 v13, v17, v13
	v_pk_fma_f16 v17, 0x3b29, v31, v35 op_sel:[0,0,1] op_sel_hi:[0,1,0] neg_lo:[0,1,0] neg_hi:[0,1,0]
	v_pk_add_f16 v8, v12, v8
	v_alignbit_b32 v12, s0, v33, 16
	v_pk_fma_f16 v31, 0xbbb2, v30, v18 op_sel:[0,0,1] op_sel_hi:[0,1,0]
	v_pk_mul_f16 v32, 0x2de8, v36 op_sel_hi:[0,1]
	v_add_f16_e32 v69, v110, v71
	v_fmac_f16_e32 v108, 0x2de8, v37
	v_add_f16_e64 v91, v131, v91
	v_fmac_f16_e64 v133, 0xb8d2, v37
	v_mul_f16_e64 v169, 0xbbb2, v29
	v_add_f16_e64 v164, v166, v164
	v_fma_f16 v166, v82, 0x39e9, -v175
	v_fmac_f16_e64 v167, 0xbbdd, v37
	v_pk_add_f16 v16, v33, v16
	v_pk_add_f16 v13, v17, v13
	v_pk_fma_f16 v17, 0xbbb2, v30, v18 op_sel:[0,0,1] op_sel_hi:[0,1,0] neg_lo:[0,1,0] neg_hi:[0,1,0]
	v_pk_add_f16 v8, v12, v8
	v_alignbit_b32 v12, s0, v31, 16
	v_pk_fma_f16 v18, 0x3bf7, v29, v32 op_sel:[0,0,1] op_sel_hi:[0,1,0]
	v_add_f16_e32 v67, v108, v69
	v_fmac_f16_e32 v112, 0xbacd, v36
	v_fmac_f16_e32 v93, 0x3b76, v36
	v_fmac_f16_e64 v157, 0xb8d2, v36
	v_add_f16_e64 v91, v133, v91
	v_fmac_f16_e64 v138, 0x39e9, v36
	v_add_f16_e64 v147, v166, v164
	v_fma_f16 v164, v76, 0xb461, -v169
	v_add_f16_e64 v87, v167, v87
	v_fmac_f16_e64 v170, 0x3722, v36
	v_pk_add_f16 v16, v31, v16
	v_pk_add_f16 v13, v17, v13
	v_pk_fma_f16 v17, 0x3bf7, v29, v32 op_sel:[0,0,1] op_sel_hi:[0,1,0] neg_lo:[0,1,0] neg_hi:[0,1,0]
	v_pk_add_f16 v8, v12, v8
	v_alignbit_b32 v12, s0, v18, 16
	v_fma_f16 v171, 0xb461, v76, v169
	v_add_f16_e32 v19, v112, v67
	v_add_f16_e32 v14, v93, v14
	v_add_f16_e64 v89, v157, v89
	v_add_f16_e64 v70, v138, v91
	;; [unrolled: 1-line block ×4, first 2 shown]
	v_lshl_add_u32 v44, v0, 6, v24
	v_pk_add_f16 v16, v18, v16
	v_pk_add_f16 v13, v17, v13
	;; [unrolled: 1-line block ×3, first 2 shown]
	v_add_f16_e64 v162, v171, v162
	v_add_f16_e64 v155, v168, v155
	v_pack_b32_f16 v19, v19, v65
	v_pack_b32_f16 v14, v14, v15
	;; [unrolled: 1-line block ×6, first 2 shown]
	ds_store_2addr_b32 v44, v10, v11 offset1:1
	ds_store_2addr_b32 v44, v14, v19 offset0:2 offset1:3
	ds_store_2addr_b32 v44, v40, v15 offset0:4 offset1:5
	;; [unrolled: 1-line block ×3, first 2 shown]
	v_alignbit_b32 v10, v16, v13, 16
	v_pack_b32_f16 v8, v8, v13
	v_pack_b32_f16 v11, v146, v114
	;; [unrolled: 1-line block ×7, first 2 shown]
	v_perm_b32 v16, v25, v1, 0x5040100
	ds_store_2addr_b32 v44, v8, v10 offset0:8 offset1:9
	ds_store_2addr_b32 v44, v12, v11 offset0:10 offset1:11
	;; [unrolled: 1-line block ×4, first 2 shown]
	ds_store_b32 v44, v16 offset:64
.LBB0_19:
	s_wait_alu 0xfffe
	s_or_b32 exec_lo, exec_lo, s1
	v_add_nc_u32_e32 v22, 0xff, v0
	v_add_nc_u16 v30, v0, 0xcc
	v_add_nc_u32_e32 v23, 0x132, v0
	v_add_nc_u16 v41, v0, 0x99
	v_add_nc_u16 v38, v0, 0x66
	v_and_b32_e32 v31, 0xffff, v22
	v_add_nc_u32_e32 v29, 0x165, v0
	v_add_nc_u16 v37, v0, 51
	v_and_b32_e32 v34, 0xff, v30
	v_and_b32_e32 v32, 0xffff, v23
	v_mul_u32_u24_e32 v35, 0xf0f1, v31
	v_and_b32_e32 v13, 0xff, v41
	v_and_b32_e32 v10, 0xff, v38
	;; [unrolled: 1-line block ×5, first 2 shown]
	v_mul_lo_u16 v44, 0xf1, v34
	v_mul_u32_u24_e32 v11, 0xf0f1, v32
	v_lshrrev_b32_e32 v47, 20, v35
	v_mul_lo_u16 v43, 0xf1, v13
	v_mul_lo_u16 v40, 0xf1, v10
	v_mul_u32_u24_e32 v12, 0xf0f1, v33
	v_mul_lo_u16 v39, 0xf1, v9
	v_mul_lo_u16 v8, 0xf1, v8
	v_lshrrev_b16 v50, 12, v44
	v_lshrrev_b32_e32 v48, 20, v11
	v_mul_lo_u16 v11, v47, 17
	v_lshrrev_b16 v51, 12, v43
	v_lshrrev_b16 v42, 12, v40
	v_lshrrev_b32_e32 v49, 20, v12
	v_lshrrev_b16 v36, 12, v39
	v_lshrrev_b16 v18, 12, v8
	v_mul_lo_u16 v14, v50, 17
	v_mul_lo_u16 v12, v48, 17
	v_sub_nc_u16 v11, v22, v11
	v_mul_lo_u16 v15, v51, 17
	v_mul_lo_u16 v10, v42, 17
	;; [unrolled: 1-line block ×5, first 2 shown]
	v_sub_nc_u16 v14, v30, v14
	v_sub_nc_u16 v12, v23, v12
	v_and_b32_e32 v11, 0xffff, v11
	v_sub_nc_u16 v15, v41, v15
	v_sub_nc_u16 v10, v38, v10
	;; [unrolled: 1-line block ×5, first 2 shown]
	v_and_b32_e32 v14, 0xff, v14
	v_and_b32_e32 v12, 0xffff, v12
	v_lshlrev_b32_e32 v52, 2, v11
	v_and_b32_e32 v11, 0xff, v15
	v_and_b32_e32 v10, 0xff, v10
	;; [unrolled: 1-line block ×5, first 2 shown]
	v_lshlrev_b32_e32 v55, 2, v14
	v_lshlrev_b32_e32 v53, 2, v12
	;; [unrolled: 1-line block ×7, first 2 shown]
	global_wb scope:SCOPE_SE
	s_wait_dscnt 0x0
	s_barrier_signal -1
	s_barrier_wait -1
	global_inv scope:SCOPE_SE
	s_clause 0x7
	global_load_b32 v56, v52, s[4:5]
	global_load_b32 v57, v53, s[4:5]
	;; [unrolled: 1-line block ×8, first 2 shown]
	ds_load_2addr_b32 v[8:9], v24 offset1:51
	ds_load_2addr_b32 v[10:11], v27 offset0:152 offset1:203
	ds_load_2addr_b32 v[12:13], v24 offset0:102 offset1:153
	;; [unrolled: 1-line block ×4, first 2 shown]
	v_and_b32_e32 v28, 0xffff, v18
	ds_load_2addr_b32 v[18:19], v27 offset0:50 offset1:101
	ds_load_2addr_b32 v[20:21], v26 offset0:202 offset1:253
	;; [unrolled: 1-line block ×3, first 2 shown]
	v_and_b32_e32 v36, 0xffff, v36
	v_and_b32_e32 v42, 0xffff, v42
	;; [unrolled: 1-line block ×4, first 2 shown]
	v_mul_u32_u24_e32 v28, 0x88, v28
	v_mul_u32_u24_e32 v47, 0x88, v47
	;; [unrolled: 1-line block ×8, first 2 shown]
	v_add3_u32 v62, 0, v28, v62
	v_add3_u32 v36, 0, v36, v61
	;; [unrolled: 1-line block ×8, first 2 shown]
	v_add_nc_u32_e32 v68, 0x200, v24
	global_wb scope:SCOPE_SE
	s_wait_loadcnt_dscnt 0x0
	s_barrier_signal -1
	s_barrier_wait -1
	global_inv scope:SCOPE_SE
	v_cmp_gt_u32_e64 s0, 17, v0
	v_pk_mul_f16 v54, v45, v63 op_sel:[0,1]
	v_pk_mul_f16 v53, v46, v56 op_sel:[0,1]
	;; [unrolled: 1-line block ×8, first 2 shown]
	v_pk_fma_f16 v69, v21, v58, v28 op_sel:[0,0,1] op_sel_hi:[1,1,0]
	v_pk_fma_f16 v21, v21, v58, v28 op_sel:[0,0,1] op_sel_hi:[1,0,0] neg_lo:[0,0,1] neg_hi:[0,0,1]
	v_pk_fma_f16 v28, v20, v57, v52 op_sel:[0,0,1] op_sel_hi:[1,1,0]
	v_pk_fma_f16 v20, v20, v57, v52 op_sel:[0,0,1] op_sel_hi:[1,0,0] neg_lo:[0,0,1] neg_hi:[0,0,1]
	;; [unrolled: 2-line block ×8, first 2 shown]
	v_bfi_b32 v10, 0xffff, v57, v10
	v_bfi_b32 v11, 0xffff, v56, v11
	;; [unrolled: 1-line block ×8, first 2 shown]
	v_pk_add_f16 v10, v8, v10 neg_lo:[0,1] neg_hi:[0,1]
	v_pk_add_f16 v11, v9, v11 neg_lo:[0,1] neg_hi:[0,1]
	;; [unrolled: 1-line block ×8, first 2 shown]
	v_pk_fma_f16 v8, v8, 2.0, v10 op_sel_hi:[1,0,1] neg_lo:[0,0,1] neg_hi:[0,0,1]
	v_pk_fma_f16 v9, v9, 2.0, v11 op_sel_hi:[1,0,1] neg_lo:[0,0,1] neg_hi:[0,0,1]
	;; [unrolled: 1-line block ×8, first 2 shown]
	ds_store_2addr_b32 v62, v8, v10 offset1:17
	ds_store_2addr_b32 v36, v9, v11 offset1:17
	ds_store_2addr_b32 v42, v12, v14 offset1:17
	ds_store_2addr_b32 v51, v13, v15 offset1:17
	ds_store_2addr_b32 v50, v16, v45 offset1:17
	ds_store_2addr_b32 v47, v17, v21 offset1:17
	ds_store_2addr_b32 v48, v18, v20 offset1:17
	ds_store_2addr_b32 v49, v19, v28 offset1:17
	global_wb scope:SCOPE_SE
	s_wait_dscnt 0x0
	s_barrier_signal -1
	s_barrier_wait -1
	global_inv scope:SCOPE_SE
	ds_load_2addr_b32 v[8:9], v24 offset1:51
	ds_load_2addr_b32 v[12:13], v68 offset0:76 offset1:144
	ds_load_2addr_b32 v[20:21], v26 offset0:32 offset1:83
	ds_load_2addr_b32 v[18:19], v27 offset0:67 offset1:118
	ds_load_2addr_b32 v[10:11], v24 offset0:102 offset1:153
	ds_load_2addr_b32 v[14:15], v26 offset0:134 offset1:185
	ds_load_2addr_b32 v[16:17], v27 offset0:169 offset1:220
	ds_load_b32 v42, v24 offset:2992
	v_lshrrev_b32_e32 v26, 16, v28
                                        ; implicit-def: $vgpr36
                                        ; implicit-def: $vgpr27
	s_and_saveexec_b32 s1, s0
	s_cbranch_execz .LBB0_21
; %bb.20:
	ds_load_b32 v28, v24 offset:1020
	ds_load_b32 v1, v24 offset:2108
	;; [unrolled: 1-line block ×3, first 2 shown]
	s_wait_dscnt 0x2
	v_lshrrev_b32_e32 v26, 16, v28
	s_wait_dscnt 0x1
	v_lshrrev_b32_e32 v25, 16, v1
	;; [unrolled: 2-line block ×3, first 2 shown]
.LBB0_21:
	s_wait_alu 0xfffe
	s_or_b32 exec_lo, exec_lo, s1
	v_subrev_nc_u32_e32 v45, 34, v0
	v_lshrrev_b16 v49, 13, v44
	v_cmp_gt_u32_e64 s1, 34, v0
	v_lshrrev_b16 v50, 13, v39
	v_lshrrev_b16 v51, 13, v40
	;; [unrolled: 1-line block ×3, first 2 shown]
	v_mul_lo_u16 v40, v49, 34
	s_wait_alu 0xf1ff
	v_cndmask_b32_e64 v52, v45, v0, s1
	v_mul_lo_u16 v43, v50, 34
	v_mul_lo_u16 v44, v51, 34
	;; [unrolled: 1-line block ×3, first 2 shown]
	v_sub_nc_u16 v45, v30, v40
	v_dual_mov_b32 v40, 0 :: v_dual_lshlrev_b32 v39, 1, v52
	v_sub_nc_u16 v43, v37, v43
	v_sub_nc_u16 v44, v38, v44
	s_delay_alu instid0(VALU_DEP_4)
	v_and_b32_e32 v54, 0xff, v45
	v_and_b32_e32 v50, 0xffff, v50
	v_lshlrev_b64_e32 v[37:38], 2, v[39:40]
	v_sub_nc_u16 v39, v41, v46
	v_and_b32_e32 v55, 0xff, v43
	v_and_b32_e32 v56, 0xff, v44
	v_lshlrev_b32_e32 v40, 3, v54
	v_and_b32_e32 v51, 0xffff, v51
	v_add_co_u32 v37, s1, s4, v37
	s_wait_alu 0xf1ff
	v_add_co_ci_u32_e64 v38, s1, s5, v38, s1
	v_and_b32_e32 v41, 0xff, v39
	v_lshlrev_b32_e32 v43, 3, v55
	s_clause 0x1
	global_load_b64 v[39:40], v40, s[4:5] offset:68
	global_load_b64 v[37:38], v[37:38], off offset:68
	v_lshlrev_b32_e32 v45, 3, v56
	v_lshlrev_b32_e32 v47, 3, v41
	s_clause 0x2
	global_load_b64 v[43:44], v43, s[4:5] offset:68
	global_load_b64 v[45:46], v45, s[4:5] offset:68
	;; [unrolled: 1-line block ×3, first 2 shown]
	v_and_b32_e32 v53, 0xffff, v53
	v_and_b32_e32 v49, 0xffff, v49
	v_cmp_lt_u32_e64 s1, 33, v0
	v_mul_u32_u24_e32 v50, 0x198, v50
	v_mul_u32_u24_e32 v51, 0x198, v51
	;; [unrolled: 1-line block ×4, first 2 shown]
	v_lshlrev_b32_e32 v55, 2, v55
	v_lshlrev_b32_e32 v56, 2, v56
	;; [unrolled: 1-line block ×4, first 2 shown]
	s_wait_alu 0xf1ff
	v_cndmask_b32_e64 v72, 0, 0x198, s1
	v_lshlrev_b32_e32 v52, 2, v52
	s_wait_dscnt 0x1
	v_lshrrev_b32_e32 v63, 16, v17
	s_wait_dscnt 0x0
	v_lshrrev_b32_e32 v64, 16, v42
	v_lshrrev_b32_e32 v65, 16, v13
	;; [unrolled: 1-line block ×3, first 2 shown]
	v_add3_u32 v50, 0, v50, v55
	v_add3_u32 v51, 0, v51, v56
	;; [unrolled: 1-line block ×4, first 2 shown]
	v_lshrrev_b32_e32 v67, 16, v18
	v_lshrrev_b32_e32 v68, 16, v21
	v_add3_u32 v52, 0, v72, v52
	v_lshrrev_b32_e32 v69, 16, v19
	v_lshrrev_b32_e32 v70, 16, v14
	;; [unrolled: 1-line block ×9, first 2 shown]
	global_wb scope:SCOPE_SE
	s_wait_loadcnt 0x0
	s_barrier_signal -1
	s_barrier_wait -1
	global_inv scope:SCOPE_SE
	v_lshrrev_b32_e32 v53, 16, v39
	v_lshrrev_b32_e32 v54, 16, v40
	;; [unrolled: 1-line block ×10, first 2 shown]
	v_mul_f16_e32 v78, v63, v53
	v_mul_f16_e32 v53, v17, v53
	;; [unrolled: 1-line block ×20, first 2 shown]
	v_fmac_f16_e32 v78, v17, v39
	v_fma_f16 v17, v63, v39, -v53
	v_fmac_f16_e32 v79, v42, v40
	v_fmac_f16_e32 v80, v37, v13
	v_fma_f16 v13, v37, v65, -v55
	v_fmac_f16_e32 v81, v38, v20
	v_fma_f16 v20, v38, v66, -v56
	v_fma_f16 v39, v64, v40, -v54
	v_fmac_f16_e32 v82, v43, v18
	v_fma_f16 v18, v43, v67, -v72
	v_fmac_f16_e32 v83, v44, v21
	;; [unrolled: 2-line block ×6, first 2 shown]
	v_fma_f16 v15, v61, v48, -v77
	v_add_f16_e32 v37, v12, v78
	v_add_f16_e32 v38, v78, v79
	;; [unrolled: 1-line block ×4, first 2 shown]
	v_sub_f16_e32 v46, v13, v20
	v_add_f16_e32 v47, v57, v13
	v_add_f16_e32 v13, v13, v20
	v_sub_f16_e32 v40, v17, v39
	v_add_f16_e32 v17, v17, v39
	v_add_f16_e32 v54, v82, v83
	;; [unrolled: 3-line block ×3, first 2 shown]
	v_add_f16_e32 v64, v84, v85
	v_sub_f16_e32 v65, v19, v14
	v_add_f16_e32 v66, v59, v19
	v_add_f16_e32 v19, v19, v14
	;; [unrolled: 1-line block ×3, first 2 shown]
	v_sub_f16_e32 v48, v80, v81
	v_add_f16_e32 v63, v10, v84
	v_add_f16_e32 v69, v86, v87
	v_sub_f16_e32 v70, v16, v15
	v_add_f16_e32 v71, v60, v16
	v_add_f16_e32 v16, v16, v15
	;; [unrolled: 1-line block ×3, first 2 shown]
	v_fmac_f16_e32 v12, -0.5, v38
	v_add_f16_e32 v38, v42, v39
	v_fma_f16 v8, -0.5, v45, v8
	v_fmac_f16_e32 v57, -0.5, v13
	v_sub_f16_e32 v43, v78, v79
	v_add_f16_e32 v53, v9, v82
	v_sub_f16_e32 v61, v82, v83
	v_add_f16_e32 v68, v11, v86
	v_fmac_f16_e32 v62, -0.5, v17
	v_fmac_f16_e32 v9, -0.5, v54
	;; [unrolled: 1-line block ×3, first 2 shown]
	v_sub_f16_e32 v67, v84, v85
	v_fma_f16 v10, -0.5, v64, v10
	v_fmac_f16_e32 v59, -0.5, v19
	v_sub_f16_e32 v72, v86, v87
	v_add_f16_e32 v17, v44, v81
	v_add_f16_e32 v20, v47, v20
	;; [unrolled: 1-line block ×4, first 2 shown]
	v_fmac_f16_e32 v11, -0.5, v69
	v_fmac_f16_e32 v60, -0.5, v16
	v_fmamk_f16 v16, v40, 0xbaee, v12
	v_fmac_f16_e32 v12, 0x3aee, v40
	v_pack_b32_f16 v37, v37, v38
	v_fmamk_f16 v38, v46, 0xbaee, v8
	v_fmamk_f16 v40, v48, 0x3aee, v57
	v_fmac_f16_e32 v8, 0x3aee, v46
	v_fmac_f16_e32 v57, 0xbaee, v48
	v_add_f16_e32 v13, v53, v83
	v_add_f16_e32 v21, v56, v21
	;; [unrolled: 1-line block ×4, first 2 shown]
	v_fmamk_f16 v39, v43, 0x3aee, v62
	v_fmac_f16_e32 v62, 0xbaee, v43
	v_fmamk_f16 v42, v55, 0xbaee, v9
	v_fmamk_f16 v43, v61, 0x3aee, v58
	v_fmac_f16_e32 v9, 0x3aee, v55
	v_fmac_f16_e32 v58, 0xbaee, v61
	v_fmamk_f16 v44, v65, 0xbaee, v10
	v_fmamk_f16 v45, v67, 0x3aee, v59
	v_fmac_f16_e32 v10, 0x3aee, v65
	v_fmac_f16_e32 v59, 0xbaee, v67
	v_fmamk_f16 v46, v70, 0xbaee, v11
	v_fmac_f16_e32 v11, 0x3aee, v70
	v_fmamk_f16 v47, v72, 0x3aee, v60
	v_fmac_f16_e32 v60, 0xbaee, v72
	v_pack_b32_f16 v17, v17, v20
	v_pack_b32_f16 v14, v18, v14
	;; [unrolled: 1-line block ×14, first 2 shown]
	ds_store_2addr_b32 v52, v17, v18 offset1:34
	ds_store_b32 v52, v8 offset:272
	ds_store_2addr_b32 v50, v13, v19 offset1:34
	ds_store_b32 v50, v9 offset:272
	;; [unrolled: 2-line block ×5, first 2 shown]
	s_and_saveexec_b32 s1, s0
	s_cbranch_execz .LBB0_23
; %bb.22:
	v_lshrrev_b32_e32 v8, 21, v35
	s_delay_alu instid0(VALU_DEP_1) | instskip(NEXT) | instid1(VALU_DEP_1)
	v_mul_lo_u16 v8, v8, 34
	v_sub_nc_u16 v8, v22, v8
	s_delay_alu instid0(VALU_DEP_1) | instskip(NEXT) | instid1(VALU_DEP_1)
	v_and_b32_e32 v10, 0xffff, v8
	v_lshlrev_b32_e32 v8, 3, v10
	global_load_b64 v[8:9], v8, s[4:5] offset:68
	s_wait_loadcnt 0x0
	v_lshrrev_b32_e32 v11, 16, v9
	v_lshrrev_b32_e32 v12, 16, v8
	s_delay_alu instid0(VALU_DEP_2) | instskip(NEXT) | instid1(VALU_DEP_2)
	v_mul_f16_e32 v13, v27, v11
	v_mul_f16_e32 v14, v1, v12
	;; [unrolled: 1-line block ×4, first 2 shown]
	s_delay_alu instid0(VALU_DEP_4) | instskip(NEXT) | instid1(VALU_DEP_4)
	v_fma_f16 v13, v36, v9, -v13
	v_fma_f16 v14, v25, v8, -v14
	s_delay_alu instid0(VALU_DEP_4) | instskip(NEXT) | instid1(VALU_DEP_4)
	v_fmac_f16_e32 v12, v1, v8
	v_fmac_f16_e32 v11, v27, v9
	v_lshl_add_u32 v1, v10, 2, 0
	s_delay_alu instid0(VALU_DEP_4) | instskip(SKIP_1) | instid1(VALU_DEP_4)
	v_add_f16_e32 v8, v14, v13
	v_add_f16_e32 v9, v26, v14
	v_add_f16_e32 v10, v12, v11
	v_add_f16_e32 v15, v28, v12
	v_sub_f16_e32 v12, v12, v11
	v_fmac_f16_e32 v26, -0.5, v8
	v_sub_f16_e32 v8, v14, v13
	v_fmac_f16_e32 v28, -0.5, v10
	v_add_f16_e32 v9, v9, v13
	v_add_f16_e32 v10, v15, v11
	v_fmamk_f16 v11, v12, 0xbaee, v26
	v_fmac_f16_e32 v26, 0x3aee, v12
	v_fmamk_f16 v12, v8, 0x3aee, v28
	v_fmac_f16_e32 v28, 0xbaee, v8
	v_add_nc_u32_e32 v8, 0x800, v1
	v_pack_b32_f16 v9, v10, v9
	s_delay_alu instid0(VALU_DEP_4) | instskip(NEXT) | instid1(VALU_DEP_4)
	v_pack_b32_f16 v11, v12, v11
	v_pack_b32_f16 v10, v28, v26
	ds_store_2addr_b32 v8, v9, v10 offset0:202 offset1:236
	ds_store_b32 v1, v11 offset:3128
.LBB0_23:
	s_wait_alu 0xfffe
	s_or_b32 exec_lo, exec_lo, s1
	v_mul_u32_u24_e32 v1, 0xa0a1, v31
	v_mul_u32_u24_e32 v8, 0xa0a1, v32
	;; [unrolled: 1-line block ×3, first 2 shown]
	v_mul_lo_u16 v10, 0xa1, v34
	v_add_co_u32 v4, s0, s4, v4
	v_lshrrev_b32_e32 v1, 22, v1
	v_lshrrev_b32_e32 v8, 22, v8
	;; [unrolled: 1-line block ×3, first 2 shown]
	v_lshrrev_b16 v10, 14, v10
	s_wait_alu 0xf1ff
	v_add_co_ci_u32_e64 v5, s0, s5, v5, s0
	v_mul_lo_u16 v1, 0x66, v1
	v_mul_lo_u16 v8, 0x66, v8
	;; [unrolled: 1-line block ×4, first 2 shown]
	global_wb scope:SCOPE_SE
	s_wait_dscnt 0x0
	v_sub_nc_u16 v1, v22, v1
	v_sub_nc_u16 v8, v23, v8
	;; [unrolled: 1-line block ×4, first 2 shown]
	s_barrier_signal -1
	s_barrier_wait -1
	global_inv scope:SCOPE_SE
	global_load_b32 v25, v[4:5], off offset:340
	v_and_b32_e32 v1, 0xffff, v1
	v_and_b32_e32 v8, 0xffff, v8
	;; [unrolled: 1-line block ×4, first 2 shown]
	v_add_co_u32 v6, s0, s4, v6
	v_lshlrev_b32_e32 v1, 2, v1
	v_lshlrev_b32_e32 v26, 2, v8
	v_lshlrev_b32_e32 v27, 2, v9
	s_wait_alu 0xf1ff
	v_add_co_ci_u32_e64 v7, s0, s5, v7, s0
	v_lshlrev_b32_e32 v28, 2, v10
	s_clause 0x4
	global_load_b32 v29, v1, s[4:5] offset:340
	global_load_b32 v30, v26, s[4:5] offset:340
	;; [unrolled: 1-line block ×3, first 2 shown]
	global_load_b32 v32, v[6:7], off offset:544
	global_load_b32 v33, v28, s[4:5] offset:340
	v_add_nc_u32_e32 v34, 0x400, v24
	v_add_nc_u32_e32 v35, 0x600, v24
	ds_load_2addr_b32 v[8:9], v34 offset0:152 offset1:203
	ds_load_2addr_b32 v[10:11], v35 offset0:126 offset1:177
	v_add_nc_u32_e32 v36, 0x800, v24
	ds_load_2addr_b32 v[12:13], v24 offset1:51
	ds_load_2addr_b32 v[14:15], v24 offset0:102 offset1:153
	ds_load_2addr_b32 v[16:17], v24 offset0:204 offset1:255
	;; [unrolled: 1-line block ×5, first 2 shown]
	v_add_nc_u32_e32 v28, 0, v28
	v_add_nc_u32_e32 v1, 0, v1
	v_add_nc_u32_e32 v26, 0, v26
	global_wb scope:SCOPE_SE
	s_wait_loadcnt_dscnt 0x0
	s_barrier_signal -1
	s_barrier_wait -1
	v_add_nc_u32_e32 v1, 0x400, v1
	v_add_nc_u32_e32 v26, 0x800, v26
	global_inv scope:SCOPE_SE
	v_pk_mul_f16 v37, v25, v8 op_sel:[0,1]
	v_pk_mul_f16 v38, v25, v10 op_sel:[0,1]
	s_delay_alu instid0(VALU_DEP_2) | instskip(SKIP_1) | instid1(VALU_DEP_3)
	v_pk_fma_f16 v39, v25, v8, v37 op_sel:[0,0,1] op_sel_hi:[1,1,0]
	v_pk_fma_f16 v8, v25, v8, v37 op_sel:[0,0,1] op_sel_hi:[1,0,0] neg_lo:[1,0,0] neg_hi:[1,0,0]
	v_pk_fma_f16 v37, v25, v10, v38 op_sel:[0,0,1] op_sel_hi:[1,1,0]
	v_pk_fma_f16 v10, v25, v10, v38 op_sel:[0,0,1] op_sel_hi:[1,0,0] neg_lo:[1,0,0] neg_hi:[1,0,0]
	v_add_nc_u32_e32 v25, 0, v27
	v_add_nc_u32_e32 v27, 0x400, v28
	v_bfi_b32 v8, 0xffff, v39, v8
	v_pk_mul_f16 v28, v32, v9 op_sel:[0,1]
	v_bfi_b32 v10, 0xffff, v37, v10
	v_pk_mul_f16 v37, v32, v11 op_sel:[0,1]
	v_pk_mul_f16 v38, v21, v31 op_sel:[0,1]
	;; [unrolled: 1-line block ×5, first 2 shown]
	v_pk_fma_f16 v42, v32, v9, v28 op_sel:[0,0,1] op_sel_hi:[1,1,0]
	v_pk_fma_f16 v9, v32, v9, v28 op_sel:[0,0,1] op_sel_hi:[1,0,0] neg_lo:[1,0,0] neg_hi:[1,0,0]
	v_pk_fma_f16 v28, v32, v11, v37 op_sel:[0,0,1] op_sel_hi:[1,1,0]
	v_pk_fma_f16 v11, v32, v11, v37 op_sel:[0,0,1] op_sel_hi:[1,0,0] neg_lo:[1,0,0] neg_hi:[1,0,0]
	;; [unrolled: 2-line block ×6, first 2 shown]
	v_bfi_b32 v9, 0xffff, v42, v9
	v_bfi_b32 v11, 0xffff, v28, v11
	v_bfi_b32 v21, 0xffff, v32, v21
	v_bfi_b32 v20, 0xffff, v31, v20
	v_bfi_b32 v22, 0xffff, v29, v22
	v_bfi_b32 v23, 0xffff, v30, v23
	v_pk_add_f16 v8, v12, v8 neg_lo:[0,1] neg_hi:[0,1]
	v_pk_add_f16 v9, v13, v9 neg_lo:[0,1] neg_hi:[0,1]
	;; [unrolled: 1-line block ×8, first 2 shown]
	v_pk_fma_f16 v12, v12, 2.0, v8 op_sel_hi:[1,0,1] neg_lo:[0,0,1] neg_hi:[0,0,1]
	v_pk_fma_f16 v13, v13, 2.0, v9 op_sel_hi:[1,0,1] neg_lo:[0,0,1] neg_hi:[0,0,1]
	;; [unrolled: 1-line block ×4, first 2 shown]
	v_add_nc_u32_e32 v25, 0x800, v25
	v_pk_fma_f16 v16, v16, 2.0, v22 op_sel_hi:[1,0,1] neg_lo:[0,0,1] neg_hi:[0,0,1]
	v_pk_fma_f16 v19, v19, 2.0, v21 op_sel_hi:[1,0,1] neg_lo:[0,0,1] neg_hi:[0,0,1]
	;; [unrolled: 1-line block ×4, first 2 shown]
	ds_store_2addr_b32 v24, v8, v9 offset0:102 offset1:153
	ds_store_2addr_b32 v34, v10, v11 offset0:50 offset1:101
	ds_store_2addr_b32 v24, v12, v13 offset1:51
	ds_store_2addr_b32 v24, v14, v15 offset0:204 offset1:255
	ds_store_2addr_b32 v27, v16, v22 offset0:152 offset1:254
	;; [unrolled: 1-line block ×5, first 2 shown]
	global_wb scope:SCOPE_SE
	s_wait_dscnt 0x0
	s_barrier_signal -1
	s_barrier_wait -1
	global_inv scope:SCOPE_SE
	s_clause 0x3
	global_load_b32 v1, v[4:5], off offset:748
	global_load_b32 v25, v[6:7], off offset:952
	;; [unrolled: 1-line block ×4, first 2 shown]
	ds_load_2addr_b32 v[8:9], v34 offset0:152 offset1:203
	ds_load_2addr_b32 v[10:11], v35 offset0:126 offset1:177
	;; [unrolled: 1-line block ×4, first 2 shown]
	ds_load_2addr_b32 v[16:17], v24 offset1:51
	ds_load_2addr_b32 v[18:19], v24 offset0:102 offset1:153
	ds_load_2addr_b32 v[20:21], v24 offset0:204 offset1:255
	;; [unrolled: 1-line block ×3, first 2 shown]
	global_wb scope:SCOPE_SE
	s_wait_loadcnt_dscnt 0x0
	s_barrier_signal -1
	s_barrier_wait -1
	global_inv scope:SCOPE_SE
	v_pk_mul_f16 v28, v1, v8 op_sel:[0,1]
	v_pk_mul_f16 v29, v25, v9 op_sel:[0,1]
	v_pk_mul_f16 v30, v26, v10 op_sel:[0,1]
	v_pk_mul_f16 v31, v27, v11 op_sel:[0,1]
	v_pk_mul_f16 v32, v12, v1 op_sel:[0,1]
	v_pk_mul_f16 v33, v13, v25 op_sel:[0,1]
	v_pk_mul_f16 v37, v14, v26 op_sel:[0,1]
	v_pk_mul_f16 v38, v15, v27 op_sel:[0,1]
	v_pk_fma_f16 v39, v1, v8, v28 op_sel:[0,0,1] op_sel_hi:[1,1,0]
	v_pk_fma_f16 v8, v1, v8, v28 op_sel:[0,0,1] op_sel_hi:[1,0,0] neg_lo:[1,0,0] neg_hi:[1,0,0]
	v_pk_fma_f16 v28, v25, v9, v29 op_sel:[0,0,1] op_sel_hi:[1,1,0]
	v_pk_fma_f16 v9, v25, v9, v29 op_sel:[0,0,1] op_sel_hi:[1,0,0] neg_lo:[1,0,0] neg_hi:[1,0,0]
	;; [unrolled: 2-line block ×8, first 2 shown]
	v_bfi_b32 v8, 0xffff, v39, v8
	v_bfi_b32 v9, 0xffff, v28, v9
	;; [unrolled: 1-line block ×8, first 2 shown]
	v_pk_add_f16 v8, v16, v8 neg_lo:[0,1] neg_hi:[0,1]
	v_pk_add_f16 v9, v17, v9 neg_lo:[0,1] neg_hi:[0,1]
	v_pk_add_f16 v10, v18, v10 neg_lo:[0,1] neg_hi:[0,1]
	v_pk_add_f16 v11, v19, v11 neg_lo:[0,1] neg_hi:[0,1]
	v_pk_add_f16 v1, v20, v1 neg_lo:[0,1] neg_hi:[0,1]
	v_pk_add_f16 v12, v21, v12 neg_lo:[0,1] neg_hi:[0,1]
	v_pk_add_f16 v13, v22, v13 neg_lo:[0,1] neg_hi:[0,1]
	v_pk_add_f16 v14, v23, v14 neg_lo:[0,1] neg_hi:[0,1]
	v_pk_fma_f16 v15, v16, 2.0, v8 op_sel_hi:[1,0,1] neg_lo:[0,0,1] neg_hi:[0,0,1]
	v_pk_fma_f16 v16, v17, 2.0, v9 op_sel_hi:[1,0,1] neg_lo:[0,0,1] neg_hi:[0,0,1]
	;; [unrolled: 1-line block ×8, first 2 shown]
	ds_store_2addr_b32 v24, v8, v9 offset0:204 offset1:255
	ds_store_2addr_b32 v34, v10, v11 offset0:50 offset1:101
	;; [unrolled: 1-line block ×4, first 2 shown]
	ds_store_2addr_b32 v24, v15, v16 offset1:51
	ds_store_2addr_b32 v24, v17, v18 offset0:102 offset1:153
	ds_store_2addr_b32 v34, v19, v20 offset0:152 offset1:203
	;; [unrolled: 1-line block ×3, first 2 shown]
	global_wb scope:SCOPE_SE
	s_wait_dscnt 0x0
	s_barrier_signal -1
	s_barrier_wait -1
	global_inv scope:SCOPE_SE
	s_clause 0x7
	global_load_b32 v1, v[6:7], off offset:2584
	global_load_b32 v20, v[6:7], off offset:2788
	;; [unrolled: 1-line block ×8, first 2 shown]
	ds_load_2addr_b32 v[4:5], v34 offset0:152 offset1:203
	ds_load_2addr_b32 v[6:7], v35 offset0:126 offset1:177
	;; [unrolled: 1-line block ×4, first 2 shown]
	ds_load_2addr_b32 v[12:13], v24 offset1:51
	ds_load_2addr_b32 v[14:15], v24 offset0:102 offset1:153
	ds_load_2addr_b32 v[16:17], v24 offset0:204 offset1:255
	;; [unrolled: 1-line block ×3, first 2 shown]
	global_wb scope:SCOPE_SE
	s_wait_loadcnt_dscnt 0x0
	s_barrier_signal -1
	s_barrier_wait -1
	global_inv scope:SCOPE_SE
	v_pk_mul_f16 v33, v9, v1 op_sel:[0,1]
	v_pk_mul_f16 v37, v10, v20 op_sel:[0,1]
	v_pk_mul_f16 v38, v11, v21 op_sel:[0,1]
	v_pk_mul_f16 v28, v22, v4 op_sel:[0,1]
	v_pk_mul_f16 v29, v23, v5 op_sel:[0,1]
	v_pk_mul_f16 v30, v25, v6 op_sel:[0,1]
	v_pk_mul_f16 v31, v26, v7 op_sel:[0,1]
	v_pk_mul_f16 v32, v8, v27 op_sel:[0,1]
	v_pk_fma_f16 v39, v22, v4, v28 op_sel:[0,0,1] op_sel_hi:[1,1,0]
	v_pk_fma_f16 v4, v22, v4, v28 op_sel:[0,0,1] op_sel_hi:[1,0,0] neg_lo:[1,0,0] neg_hi:[1,0,0]
	v_pk_fma_f16 v22, v23, v5, v29 op_sel:[0,0,1] op_sel_hi:[1,1,0]
	v_pk_fma_f16 v5, v23, v5, v29 op_sel:[0,0,1] op_sel_hi:[1,0,0] neg_lo:[1,0,0] neg_hi:[1,0,0]
	;; [unrolled: 2-line block ×8, first 2 shown]
	v_bfi_b32 v4, 0xffff, v39, v4
	v_bfi_b32 v5, 0xffff, v22, v5
	;; [unrolled: 1-line block ×8, first 2 shown]
	v_pk_add_f16 v4, v12, v4 neg_lo:[0,1] neg_hi:[0,1]
	v_pk_add_f16 v5, v13, v5 neg_lo:[0,1] neg_hi:[0,1]
	;; [unrolled: 1-line block ×8, first 2 shown]
	v_pk_fma_f16 v11, v12, 2.0, v4 op_sel_hi:[1,0,1] neg_lo:[0,0,1] neg_hi:[0,0,1]
	v_pk_fma_f16 v12, v13, 2.0, v5 op_sel_hi:[1,0,1] neg_lo:[0,0,1] neg_hi:[0,0,1]
	;; [unrolled: 1-line block ×8, first 2 shown]
	ds_store_2addr_b32 v34, v4, v5 offset0:152 offset1:203
	ds_store_2addr_b32 v35, v6, v7 offset0:126 offset1:177
	ds_store_2addr_b32 v36, v8, v1 offset0:100 offset1:151
	ds_store_2addr_b32 v36, v9, v10 offset0:202 offset1:253
	ds_store_2addr_b32 v24, v11, v12 offset1:51
	ds_store_2addr_b32 v24, v13, v14 offset0:102 offset1:153
	ds_store_2addr_b32 v24, v15, v16 offset0:204 offset1:255
	;; [unrolled: 1-line block ×3, first 2 shown]
	global_wb scope:SCOPE_SE
	s_wait_dscnt 0x0
	s_barrier_signal -1
	s_barrier_wait -1
	global_inv scope:SCOPE_SE
	s_and_saveexec_b32 s0, vcc_lo
	s_cbranch_execz .LBB0_25
; %bb.24:
	v_dual_mov_b32 v1, 0 :: v_dual_add_nc_u32 v4, 51, v0
	v_add_co_u32 v31, vcc_lo, s8, v2
	s_wait_alu 0xfffd
	v_add_co_ci_u32_e32 v32, vcc_lo, s9, v3, vcc_lo
	s_delay_alu instid0(VALU_DEP_3) | instskip(SKIP_2) | instid1(VALU_DEP_3)
	v_dual_mov_b32 v5, v1 :: v_dual_add_nc_u32 v8, 0x66, v0
	v_lshlrev_b64_e32 v[2:3], 2, v[0:1]
	v_dual_mov_b32 v9, v1 :: v_dual_add_nc_u32 v10, 0x99, v0
	v_lshlrev_b64_e32 v[4:5], 2, v[4:5]
	v_lshl_add_u32 v30, v0, 2, 0
	v_dual_mov_b32 v11, v1 :: v_dual_add_nc_u32 v14, 0xcc, v0
	v_add_co_u32 v2, vcc_lo, v31, v2
	v_lshlrev_b64_e32 v[8:9], 2, v[8:9]
	v_dual_mov_b32 v15, v1 :: v_dual_add_nc_u32 v18, 0xff, v0
	s_wait_alu 0xfffd
	v_add_co_ci_u32_e32 v3, vcc_lo, v32, v3, vcc_lo
	ds_load_2addr_b32 v[6:7], v30 offset1:51
	v_add_co_u32 v4, vcc_lo, v31, v4
	v_lshlrev_b64_e32 v[10:11], 2, v[10:11]
	v_dual_mov_b32 v19, v1 :: v_dual_add_nc_u32 v20, 0x132, v0
	v_add_nc_u32_e32 v33, 0x400, v30
	s_wait_alu 0xfffd
	v_add_co_ci_u32_e32 v5, vcc_lo, v32, v5, vcc_lo
	ds_load_2addr_b32 v[12:13], v30 offset0:102 offset1:153
	v_add_co_u32 v8, vcc_lo, v31, v8
	v_lshlrev_b64_e32 v[14:15], 2, v[14:15]
	ds_load_2addr_b32 v[16:17], v30 offset0:204 offset1:255
	v_dual_mov_b32 v21, v1 :: v_dual_add_nc_u32 v22, 0x165, v0
	s_wait_alu 0xfffd
	v_add_co_ci_u32_e32 v9, vcc_lo, v32, v9, vcc_lo
	v_add_co_u32 v10, vcc_lo, v31, v10
	v_lshlrev_b64_e32 v[18:19], 2, v[18:19]
	ds_load_2addr_b32 v[24:25], v33 offset0:50 offset1:101
	v_dual_mov_b32 v23, v1 :: v_dual_add_nc_u32 v26, 0x198, v0
	s_wait_alu 0xfffd
	v_add_co_ci_u32_e32 v11, vcc_lo, v32, v11, vcc_lo
	v_add_co_u32 v14, vcc_lo, v31, v14
	v_lshlrev_b64_e32 v[20:21], 2, v[20:21]
	s_wait_alu 0xfffd
	v_add_co_ci_u32_e32 v15, vcc_lo, v32, v15, vcc_lo
	v_add_co_u32 v18, vcc_lo, v31, v18
	v_lshlrev_b64_e32 v[22:23], 2, v[22:23]
	s_wait_alu 0xfffd
	v_add_co_ci_u32_e32 v19, vcc_lo, v32, v19, vcc_lo
	v_add_co_u32 v20, vcc_lo, v31, v20
	v_dual_mov_b32 v27, v1 :: v_dual_add_nc_u32 v28, 0x1cb, v0
	s_wait_alu 0xfffd
	v_add_co_ci_u32_e32 v21, vcc_lo, v32, v21, vcc_lo
	v_add_co_u32 v22, vcc_lo, v31, v22
	v_mov_b32_e32 v29, v1
	s_wait_alu 0xfffd
	v_add_co_ci_u32_e32 v23, vcc_lo, v32, v23, vcc_lo
	s_wait_dscnt 0x3
	s_clause 0x1
	global_store_b32 v[2:3], v6, off
	global_store_b32 v[4:5], v7, off
	s_wait_dscnt 0x2
	s_clause 0x1
	global_store_b32 v[8:9], v12, off
	global_store_b32 v[10:11], v13, off
	;; [unrolled: 4-line block ×4, first 2 shown]
	v_add_nc_u32_e32 v8, 0x1fe, v0
	v_lshlrev_b64_e32 v[2:3], 2, v[26:27]
	v_dual_mov_b32 v9, v1 :: v_dual_add_nc_u32 v10, 0x600, v30
	v_lshlrev_b64_e32 v[6:7], 2, v[28:29]
	v_dual_mov_b32 v13, v1 :: v_dual_add_nc_u32 v12, 0x231, v0
	s_delay_alu instid0(VALU_DEP_4) | instskip(NEXT) | instid1(VALU_DEP_4)
	v_add_co_u32 v2, vcc_lo, v31, v2
	v_lshlrev_b64_e32 v[8:9], 2, v[8:9]
	v_dual_mov_b32 v15, v1 :: v_dual_add_nc_u32 v14, 0x264, v0
	s_wait_alu 0xfffd
	v_add_co_ci_u32_e32 v3, vcc_lo, v32, v3, vcc_lo
	v_dual_mov_b32 v17, v1 :: v_dual_add_nc_u32 v22, 0x800, v30
	ds_load_2addr_b32 v[4:5], v33 offset0:152 offset1:203
	v_add_co_u32 v6, vcc_lo, v31, v6
	v_lshlrev_b64_e32 v[12:13], 2, v[12:13]
	v_dual_mov_b32 v21, v1 :: v_dual_add_nc_u32 v16, 0x297, v0
	s_wait_alu 0xfffd
	v_add_co_ci_u32_e32 v7, vcc_lo, v32, v7, vcc_lo
	ds_load_2addr_b32 v[10:11], v10 offset0:126 offset1:177
	v_add_co_u32 v8, vcc_lo, v31, v8
	v_lshlrev_b64_e32 v[14:15], 2, v[14:15]
	ds_load_2addr_b32 v[18:19], v22 offset0:100 offset1:151
	v_add_nc_u32_e32 v20, 0x2ca, v0
	s_wait_alu 0xfffd
	v_add_co_ci_u32_e32 v9, vcc_lo, v32, v9, vcc_lo
	v_add_co_u32 v12, vcc_lo, v31, v12
	v_lshlrev_b64_e32 v[16:17], 2, v[16:17]
	ds_load_2addr_b32 v[22:23], v22 offset0:202 offset1:253
	v_add_nc_u32_e32 v0, 0x2fd, v0
	s_wait_alu 0xfffd
	v_add_co_ci_u32_e32 v13, vcc_lo, v32, v13, vcc_lo
	v_add_co_u32 v14, vcc_lo, v31, v14
	v_lshlrev_b64_e32 v[20:21], 2, v[20:21]
	s_wait_alu 0xfffd
	v_add_co_ci_u32_e32 v15, vcc_lo, v32, v15, vcc_lo
	v_add_co_u32 v16, vcc_lo, v31, v16
	v_lshlrev_b64_e32 v[0:1], 2, v[0:1]
	s_wait_alu 0xfffd
	v_add_co_ci_u32_e32 v17, vcc_lo, v32, v17, vcc_lo
	v_add_co_u32 v20, vcc_lo, v31, v20
	s_wait_alu 0xfffd
	v_add_co_ci_u32_e32 v21, vcc_lo, v32, v21, vcc_lo
	v_add_co_u32 v0, vcc_lo, v31, v0
	s_wait_alu 0xfffd
	v_add_co_ci_u32_e32 v1, vcc_lo, v32, v1, vcc_lo
	s_wait_dscnt 0x3
	s_clause 0x1
	global_store_b32 v[2:3], v4, off
	global_store_b32 v[6:7], v5, off
	s_wait_dscnt 0x2
	s_clause 0x1
	global_store_b32 v[8:9], v10, off
	global_store_b32 v[12:13], v11, off
	;; [unrolled: 4-line block ×4, first 2 shown]
.LBB0_25:
	s_nop 0
	s_sendmsg sendmsg(MSG_DEALLOC_VGPRS)
	s_endpgm
	.section	.rodata,"a",@progbits
	.p2align	6, 0x0
	.amdhsa_kernel fft_rtc_back_len816_factors_17_2_3_2_2_2_wgs_51_tpt_51_halfLds_half_ip_CI_unitstride_sbrr_C2R_dirReg
		.amdhsa_group_segment_fixed_size 0
		.amdhsa_private_segment_fixed_size 0
		.amdhsa_kernarg_size 88
		.amdhsa_user_sgpr_count 2
		.amdhsa_user_sgpr_dispatch_ptr 0
		.amdhsa_user_sgpr_queue_ptr 0
		.amdhsa_user_sgpr_kernarg_segment_ptr 1
		.amdhsa_user_sgpr_dispatch_id 0
		.amdhsa_user_sgpr_private_segment_size 0
		.amdhsa_wavefront_size32 1
		.amdhsa_uses_dynamic_stack 0
		.amdhsa_enable_private_segment 0
		.amdhsa_system_sgpr_workgroup_id_x 1
		.amdhsa_system_sgpr_workgroup_id_y 0
		.amdhsa_system_sgpr_workgroup_id_z 0
		.amdhsa_system_sgpr_workgroup_info 0
		.amdhsa_system_vgpr_workitem_id 0
		.amdhsa_next_free_vgpr 176
		.amdhsa_next_free_sgpr 32
		.amdhsa_reserve_vcc 1
		.amdhsa_float_round_mode_32 0
		.amdhsa_float_round_mode_16_64 0
		.amdhsa_float_denorm_mode_32 3
		.amdhsa_float_denorm_mode_16_64 3
		.amdhsa_fp16_overflow 0
		.amdhsa_workgroup_processor_mode 1
		.amdhsa_memory_ordered 1
		.amdhsa_forward_progress 0
		.amdhsa_round_robin_scheduling 0
		.amdhsa_exception_fp_ieee_invalid_op 0
		.amdhsa_exception_fp_denorm_src 0
		.amdhsa_exception_fp_ieee_div_zero 0
		.amdhsa_exception_fp_ieee_overflow 0
		.amdhsa_exception_fp_ieee_underflow 0
		.amdhsa_exception_fp_ieee_inexact 0
		.amdhsa_exception_int_div_zero 0
	.end_amdhsa_kernel
	.text
.Lfunc_end0:
	.size	fft_rtc_back_len816_factors_17_2_3_2_2_2_wgs_51_tpt_51_halfLds_half_ip_CI_unitstride_sbrr_C2R_dirReg, .Lfunc_end0-fft_rtc_back_len816_factors_17_2_3_2_2_2_wgs_51_tpt_51_halfLds_half_ip_CI_unitstride_sbrr_C2R_dirReg
                                        ; -- End function
	.section	.AMDGPU.csdata,"",@progbits
; Kernel info:
; codeLenInByte = 15728
; NumSgprs: 34
; NumVgprs: 176
; ScratchSize: 0
; MemoryBound: 0
; FloatMode: 240
; IeeeMode: 1
; LDSByteSize: 0 bytes/workgroup (compile time only)
; SGPRBlocks: 4
; VGPRBlocks: 21
; NumSGPRsForWavesPerEU: 34
; NumVGPRsForWavesPerEU: 176
; Occupancy: 8
; WaveLimiterHint : 1
; COMPUTE_PGM_RSRC2:SCRATCH_EN: 0
; COMPUTE_PGM_RSRC2:USER_SGPR: 2
; COMPUTE_PGM_RSRC2:TRAP_HANDLER: 0
; COMPUTE_PGM_RSRC2:TGID_X_EN: 1
; COMPUTE_PGM_RSRC2:TGID_Y_EN: 0
; COMPUTE_PGM_RSRC2:TGID_Z_EN: 0
; COMPUTE_PGM_RSRC2:TIDIG_COMP_CNT: 0
	.text
	.p2alignl 7, 3214868480
	.fill 96, 4, 3214868480
	.type	__hip_cuid_2bce843b83c936a7,@object ; @__hip_cuid_2bce843b83c936a7
	.section	.bss,"aw",@nobits
	.globl	__hip_cuid_2bce843b83c936a7
__hip_cuid_2bce843b83c936a7:
	.byte	0                               ; 0x0
	.size	__hip_cuid_2bce843b83c936a7, 1

	.ident	"AMD clang version 19.0.0git (https://github.com/RadeonOpenCompute/llvm-project roc-6.4.0 25133 c7fe45cf4b819c5991fe208aaa96edf142730f1d)"
	.section	".note.GNU-stack","",@progbits
	.addrsig
	.addrsig_sym __hip_cuid_2bce843b83c936a7
	.amdgpu_metadata
---
amdhsa.kernels:
  - .args:
      - .actual_access:  read_only
        .address_space:  global
        .offset:         0
        .size:           8
        .value_kind:     global_buffer
      - .offset:         8
        .size:           8
        .value_kind:     by_value
      - .actual_access:  read_only
        .address_space:  global
        .offset:         16
        .size:           8
        .value_kind:     global_buffer
      - .actual_access:  read_only
        .address_space:  global
        .offset:         24
        .size:           8
        .value_kind:     global_buffer
      - .offset:         32
        .size:           8
        .value_kind:     by_value
      - .actual_access:  read_only
        .address_space:  global
        .offset:         40
        .size:           8
        .value_kind:     global_buffer
      - .actual_access:  read_only
        .address_space:  global
        .offset:         48
        .size:           8
        .value_kind:     global_buffer
      - .offset:         56
        .size:           4
        .value_kind:     by_value
      - .actual_access:  read_only
        .address_space:  global
        .offset:         64
        .size:           8
        .value_kind:     global_buffer
      - .actual_access:  read_only
        .address_space:  global
        .offset:         72
        .size:           8
        .value_kind:     global_buffer
      - .address_space:  global
        .offset:         80
        .size:           8
        .value_kind:     global_buffer
    .group_segment_fixed_size: 0
    .kernarg_segment_align: 8
    .kernarg_segment_size: 88
    .language:       OpenCL C
    .language_version:
      - 2
      - 0
    .max_flat_workgroup_size: 51
    .name:           fft_rtc_back_len816_factors_17_2_3_2_2_2_wgs_51_tpt_51_halfLds_half_ip_CI_unitstride_sbrr_C2R_dirReg
    .private_segment_fixed_size: 0
    .sgpr_count:     34
    .sgpr_spill_count: 0
    .symbol:         fft_rtc_back_len816_factors_17_2_3_2_2_2_wgs_51_tpt_51_halfLds_half_ip_CI_unitstride_sbrr_C2R_dirReg.kd
    .uniform_work_group_size: 1
    .uses_dynamic_stack: false
    .vgpr_count:     176
    .vgpr_spill_count: 0
    .wavefront_size: 32
    .workgroup_processor_mode: 1
amdhsa.target:   amdgcn-amd-amdhsa--gfx1201
amdhsa.version:
  - 1
  - 2
...

	.end_amdgpu_metadata
